;; amdgpu-corpus repo=ROCm/rocFFT kind=compiled arch=gfx906 opt=O3
	.text
	.amdgcn_target "amdgcn-amd-amdhsa--gfx906"
	.amdhsa_code_object_version 6
	.protected	bluestein_single_fwd_len2016_dim1_sp_op_CI_CI ; -- Begin function bluestein_single_fwd_len2016_dim1_sp_op_CI_CI
	.globl	bluestein_single_fwd_len2016_dim1_sp_op_CI_CI
	.p2align	8
	.type	bluestein_single_fwd_len2016_dim1_sp_op_CI_CI,@function
bluestein_single_fwd_len2016_dim1_sp_op_CI_CI: ; @bluestein_single_fwd_len2016_dim1_sp_op_CI_CI
; %bb.0:
	s_load_dwordx4 s[16:19], s[4:5], 0x28
	v_mul_u32_u24_e32 v1, 0x24a, v0
	v_lshrrev_b32_e32 v1, 16, v1
	v_lshl_add_u32 v110, s6, 1, v1
	v_mov_b32_e32 v111, 0
	s_waitcnt lgkmcnt(0)
	v_cmp_gt_u64_e32 vcc, s[16:17], v[110:111]
	s_and_saveexec_b64 s[0:1], vcc
	s_cbranch_execz .LBB0_10
; %bb.1:
	s_load_dwordx4 s[8:11], s[4:5], 0x18
	s_load_dwordx4 s[12:15], s[4:5], 0x0
	v_mul_lo_u16_e32 v2, 0x70, v1
	v_sub_u16_e32 v164, v0, v2
	v_lshlrev_b32_e32 v17, 3, v164
	s_waitcnt lgkmcnt(0)
	s_load_dwordx4 s[0:3], s[8:9], 0x0
	s_movk_i32 s17, 0x3000
	v_or_b32_e32 v163, 0x700, v164
	v_or_b32_e32 v162, 0x380, v164
	v_lshlrev_b32_e32 v200, 3, v163
	s_waitcnt lgkmcnt(0)
	v_mad_u64_u32 v[2:3], s[6:7], s2, v110, 0
	v_mad_u64_u32 v[4:5], s[6:7], s0, v164, 0
	v_mov_b32_e32 v0, v3
	s_movk_i32 s6, 0x1000
	v_mov_b32_e32 v3, v5
	v_mad_u64_u32 v[5:6], s[2:3], s3, v110, v[0:1]
	v_mad_u64_u32 v[6:7], s[2:3], s1, v164, v[3:4]
	v_mov_b32_e32 v3, v5
	v_lshlrev_b64 v[2:3], 3, v[2:3]
	v_mov_b32_e32 v0, s19
	v_mov_b32_e32 v5, v6
	v_add_co_u32_e32 v32, vcc, s18, v2
	v_addc_co_u32_e32 v33, vcc, v0, v3, vcc
	v_lshlrev_b64 v[2:3], 3, v[4:5]
	v_mov_b32_e32 v0, s13
	v_add_co_u32_e32 v2, vcc, v32, v2
	v_addc_co_u32_e32 v3, vcc, v33, v3, vcc
	v_add_co_u32_e32 v23, vcc, s12, v17
	s_mul_i32 s2, s1, 0x1f80
	s_mul_hi_u32 s3, s0, 0x1f80
	v_addc_co_u32_e32 v24, vcc, 0, v0, vcc
	s_add_i32 s2, s3, s2
	s_mul_i32 s3, s0, 0x1f80
	global_load_dwordx2 v[4:5], v[2:3], off
	v_mov_b32_e32 v0, s2
	v_add_co_u32_e32 v2, vcc, s3, v2
	v_addc_co_u32_e32 v3, vcc, v3, v0, vcc
	s_mul_hi_u32 s8, s0, 0xffffe400
	v_add_co_u32_e32 v9, vcc, s6, v23
	s_mul_i32 s7, s1, 0xffffe400
	s_sub_i32 s16, s8, s0
	v_addc_co_u32_e32 v10, vcc, 0, v24, vcc
	s_add_i32 s16, s16, s7
	s_mul_i32 s7, s0, 0xffffe400
	global_load_dwordx2 v[6:7], v[2:3], off
	v_mov_b32_e32 v0, s16
	v_add_co_u32_e32 v2, vcc, s7, v2
	v_addc_co_u32_e32 v3, vcc, v3, v0, vcc
	global_load_dwordx2 v[127:128], v[9:10], off offset:3968
	global_load_dwordx2 v[11:12], v[2:3], off
	global_load_dwordx2 v[133:134], v17, s[12:13]
	global_load_dwordx2 v[125:126], v17, s[12:13] offset:896
	v_mov_b32_e32 v0, s2
	v_add_co_u32_e32 v2, vcc, s3, v2
	v_addc_co_u32_e32 v3, vcc, v3, v0, vcc
	s_movk_i32 s8, 0x2000
	v_add_co_u32_e32 v13, vcc, s8, v23
	v_addc_co_u32_e32 v14, vcc, 0, v24, vcc
	v_and_b32_e32 v0, 1, v1
	v_mov_b32_e32 v1, 0x7e0
	v_cmp_eq_u32_e32 vcc, 1, v0
	v_cndmask_b32_e32 v0, 0, v1, vcc
	v_lshlrev_b32_e32 v220, 3, v0
	s_movk_i32 s8, 0x70
	v_add_co_u32_e32 v8, vcc, s8, v164
	v_add_u32_e32 v161, v220, v17
	global_load_dwordx2 v[121:122], v[13:14], off offset:768
	global_load_dwordx2 v[15:16], v[2:3], off
	s_load_dwordx4 s[8:11], s[10:11], 0x0
	global_load_dwordx2 v[119:120], v17, s[12:13] offset:1792
	global_load_dwordx2 v[115:116], v17, s[12:13] offset:2688
	global_load_dwordx2 v[123:124], v[13:14], off offset:1664
	global_load_dwordx2 v[111:112], v[13:14], off offset:2560
	;; [unrolled: 1-line block ×6, first 2 shown]
	v_mov_b32_e32 v28, s16
	v_lshlrev_b32_e32 v192, 3, v162
	v_lshl_add_u32 v165, v164, 4, v220
	v_lshl_add_u32 v166, v8, 4, v220
	;; [unrolled: 1-line block ×3, first 2 shown]
                                        ; implicit-def: $vgpr157
                                        ; implicit-def: $vgpr155
                                        ; implicit-def: $vgpr159
	s_waitcnt vmcnt(11)
	v_mul_f32_e32 v0, v5, v134
	v_mul_f32_e32 v1, v4, v134
	v_fmac_f32_e32 v0, v4, v133
	v_fma_f32 v1, v5, v133, -v1
	v_mul_f32_e32 v4, v7, v128
	v_mul_f32_e32 v5, v6, v128
	v_fmac_f32_e32 v4, v6, v127
	v_fma_f32 v5, v7, v127, -v5
	s_waitcnt vmcnt(10)
	v_mul_f32_e32 v6, v12, v126
	v_mul_f32_e32 v7, v11, v126
	v_fmac_f32_e32 v6, v11, v125
	v_fma_f32 v7, v12, v125, -v7
	ds_write_b64 v161, v[4:5] offset:8064
	ds_write2_b64 v161, v[0:1], v[6:7] offset1:112
	v_mov_b32_e32 v1, s16
	v_add_co_u32_e32 v0, vcc, s7, v2
	v_addc_co_u32_e32 v1, vcc, v3, v1, vcc
	global_load_dwordx2 v[2:3], v[0:1], off
	v_mov_b32_e32 v5, s2
	v_add_co_u32_e32 v0, vcc, s3, v0
	v_addc_co_u32_e32 v1, vcc, v1, v5, vcc
	global_load_dwordx2 v[6:7], v[0:1], off
	;; [unrolled: 4-line block ×5, first 2 shown]
	global_load_dwordx2 v[131:132], v17, s[12:13] offset:3584
	v_mov_b32_e32 v5, s2
	v_add_co_u32_e32 v0, vcc, s3, v0
	v_addc_co_u32_e32 v1, vcc, v1, v5, vcc
	global_load_dwordx2 v[17:18], v[0:1], off
	v_mov_b32_e32 v5, s16
	v_add_co_u32_e32 v0, vcc, s7, v0
	v_addc_co_u32_e32 v1, vcc, v1, v5, vcc
	global_load_dwordx2 v[19:20], v[0:1], off
	v_mov_b32_e32 v5, s2
	v_add_co_u32_e32 v0, vcc, s3, v0
	v_addc_co_u32_e32 v1, vcc, v1, v5, vcc
	v_add_co_u32_e32 v23, vcc, s17, v23
	v_addc_co_u32_e32 v24, vcc, 0, v24, vcc
	global_load_dwordx2 v[21:22], v[0:1], off
	v_mov_b32_e32 v5, s16
	v_add_co_u32_e32 v0, vcc, s7, v0
	v_addc_co_u32_e32 v1, vcc, v1, v5, vcc
	global_load_dwordx2 v[30:31], v[0:1], off
	v_mov_b32_e32 v5, s2
	v_add_co_u32_e32 v0, vcc, s3, v0
	v_mad_u64_u32 v[25:26], s[2:3], s0, v163, 0
	v_addc_co_u32_e32 v1, vcc, v1, v5, vcc
	v_mov_b32_e32 v5, v26
	global_load_dwordx2 v[34:35], v[0:1], off
	v_add_co_u32_e32 v0, vcc, s7, v0
	v_addc_co_u32_e32 v1, vcc, v1, v28, vcc
	global_load_dwordx2 v[129:130], v[23:24], off offset:256
	global_load_dwordx2 v[117:118], v[23:24], off offset:1152
	global_load_dwordx2 v[36:37], v[0:1], off
	global_load_dwordx2 v[113:114], v200, s[12:13]
	global_load_dwordx2 v[108:109], v192, s[12:13]
	s_waitcnt vmcnt(24)
	v_mul_f32_e32 v4, v16, v122
	v_fmac_f32_e32 v4, v15, v121
	s_waitcnt vmcnt(14)
	v_mad_u64_u32 v[26:27], s[2:3], s1, v163, v[5:6]
	v_mad_u64_u32 v[27:28], s[2:3], s0, v162, 0
	v_lshlrev_b64 v[25:26], 3, v[25:26]
	v_mov_b32_e32 v5, v28
	v_mad_u64_u32 v[28:29], s[2:3], s1, v162, v[5:6]
	v_add_co_u32_e32 v25, vcc, v32, v25
	v_addc_co_u32_e32 v26, vcc, v33, v26, vcc
	global_load_dwordx2 v[38:39], v[25:26], off
	v_lshlrev_b64 v[25:26], 3, v[27:28]
	v_mov_b32_e32 v5, 0x2300
	v_mad_u64_u32 v[0:1], s[2:3], s0, v5, v[0:1]
	v_add_co_u32_e32 v25, vcc, v32, v25
	v_addc_co_u32_e32 v26, vcc, v33, v26, vcc
	global_load_dwordx2 v[40:41], v[25:26], off
	s_mul_i32 s0, s1, 0x2300
	v_add_u32_e32 v1, s0, v1
	global_load_dwordx2 v[42:43], v[0:1], off
	global_load_dwordx2 v[102:103], v[23:24], off offset:2944
	v_mul_f32_e32 v0, v3, v120
	v_mul_f32_e32 v1, v2, v120
	v_mul_f32_e32 v5, v15, v122
	v_fmac_f32_e32 v0, v2, v119
	v_fma_f32 v1, v3, v119, -v1
	v_mul_f32_e32 v2, v7, v124
	v_mul_f32_e32 v3, v6, v124
	v_fma_f32 v5, v16, v121, -v5
	v_fmac_f32_e32 v2, v6, v123
	v_fma_f32 v3, v7, v123, -v3
	v_add_u32_e32 v25, 0x2000, v161
	ds_write2_b64 v25, v[4:5], v[2:3] offset0:96 offset1:208
	s_waitcnt vmcnt(17)
	v_mul_f32_e32 v2, v10, v116
	v_mul_f32_e32 v3, v9, v116
	v_fmac_f32_e32 v2, v9, v115
	v_fma_f32 v3, v10, v115, -v3
	v_add_u32_e32 v27, 0x400, v161
	ds_write2_b64 v27, v[0:1], v[2:3] offset0:96 offset1:208
	s_waitcnt vmcnt(16)
	v_mul_f32_e32 v0, v12, v112
	v_mul_f32_e32 v1, v11, v112
	s_waitcnt vmcnt(13)
	v_mul_f32_e32 v4, v18, v107
	v_mul_f32_e32 v5, v17, v107
	v_fmac_f32_e32 v0, v11, v111
	v_fma_f32 v1, v12, v111, -v1
	v_fmac_f32_e32 v4, v17, v106
	v_fma_f32 v5, v18, v106, -v5
	v_add_u32_e32 v29, 0x2800, v161
	v_mul_f32_e32 v2, v14, v132
	v_mul_f32_e32 v3, v13, v132
	ds_write2_b64 v29, v[0:1], v[4:5] offset0:64 offset1:176
	s_waitcnt vmcnt(12)
	v_mul_f32_e32 v0, v20, v105
	v_mul_f32_e32 v1, v19, v105
	v_fmac_f32_e32 v2, v13, v131
	v_fma_f32 v3, v14, v131, -v3
	v_fmac_f32_e32 v0, v19, v104
	v_fma_f32 v1, v20, v104, -v1
	v_add_u32_e32 v28, 0xc00, v161
	ds_write2_b64 v28, v[2:3], v[0:1] offset0:64 offset1:176
	s_waitcnt vmcnt(8)
	v_mul_f32_e32 v0, v22, v130
	v_mul_f32_e32 v1, v21, v130
	;; [unrolled: 1-line block ×3, first 2 shown]
	s_waitcnt vmcnt(7)
	v_mul_f32_e32 v4, v35, v118
	v_mul_f32_e32 v5, v34, v118
	v_fmac_f32_e32 v0, v21, v129
	v_fma_f32 v1, v22, v129, -v1
	v_mul_f32_e32 v2, v31, v101
	v_fma_f32 v3, v31, v100, -v3
	v_fmac_f32_e32 v4, v34, v117
	v_fma_f32 v5, v35, v117, -v5
	v_add_u32_e32 v31, 0x3000, v161
	ds_write2_b64 v31, v[0:1], v[4:5] offset0:32 offset1:144
	s_waitcnt vmcnt(6)
	v_mul_f32_e32 v4, v37, v99
	v_mul_f32_e32 v1, v36, v99
	v_fmac_f32_e32 v2, v30, v100
	v_fmac_f32_e32 v4, v36, v98
	v_fma_f32 v5, v37, v98, -v1
	v_add_u32_e32 v34, 0x1400, v161
	ds_write2_b64 v34, v[2:3], v[4:5] offset0:32 offset1:144
	v_add_u32_e32 v30, 0x3800, v161
	v_add_u32_e32 v26, 0x1800, v161
	s_movk_i32 s1, 0x150
	v_add_co_u32_e32 v16, vcc, s1, v164
	s_movk_i32 s1, 0x1c0
	s_movk_i32 s0, 0xe0
	v_add_co_u32_e32 v33, vcc, s1, v164
	s_waitcnt vmcnt(3)
	v_mul_f32_e32 v1, v39, v114
	v_mul_f32_e32 v2, v38, v114
	v_fmac_f32_e32 v1, v38, v113
	v_fma_f32 v2, v39, v113, -v2
	s_movk_i32 s1, 0x230
	v_lshlrev_b32_e32 v0, 1, v164
	v_add_co_u32_e32 v24, vcc, s0, v164
	v_add_co_u32_e32 v32, vcc, s1, v164
	s_waitcnt vmcnt(2)
	v_mul_f32_e32 v3, v41, v109
	v_mul_f32_e32 v4, v40, v109
	v_fmac_f32_e32 v3, v40, v108
	v_fma_f32 v4, v41, v108, -v4
	ds_write_b64 v161, v[3:4] offset:7168
	s_waitcnt vmcnt(0)
	v_mul_f32_e32 v3, v43, v103
	v_mul_f32_e32 v4, v42, v103
	v_fmac_f32_e32 v3, v42, v102
	v_fma_f32 v4, v43, v102, -v4
	ds_write2_b64 v30, v[1:2], v[3:4] offset1:112
	s_waitcnt lgkmcnt(0)
	s_barrier
	ds_read2_b64 v[1:4], v161 offset1:112
	ds_read2_b64 v[9:12], v26 offset0:128 offset1:240
	ds_read2_b64 v[17:20], v25 offset0:96 offset1:208
	;; [unrolled: 1-line block ×7, first 2 shown]
	ds_read2_b64 v[55:58], v30 offset1:112
	s_waitcnt lgkmcnt(5)
	v_sub_f32_e32 v19, v35, v19
	s_waitcnt lgkmcnt(3)
	v_sub_f32_e32 v61, v43, v41
	v_sub_f32_e32 v62, v44, v42
	;; [unrolled: 1-line block ×6, first 2 shown]
	v_fma_f32 v59, v43, 2.0, -v61
	v_fma_f32 v60, v44, 2.0, -v62
	s_waitcnt lgkmcnt(2)
	v_sub_f32_e32 v43, v45, v47
	v_sub_f32_e32 v44, v46, v48
	s_waitcnt lgkmcnt(1)
	v_sub_f32_e32 v47, v51, v49
	v_sub_f32_e32 v48, v52, v50
	v_fma_f32 v11, v1, 2.0, -v13
	v_fma_f32 v12, v2, 2.0, -v14
	;; [unrolled: 1-line block ×4, first 2 shown]
	v_sub_f32_e32 v20, v36, v20
	v_sub_f32_e32 v39, v37, v39
	;; [unrolled: 1-line block ×3, first 2 shown]
	v_fma_f32 v41, v45, 2.0, -v43
	v_fma_f32 v42, v46, 2.0, -v44
	;; [unrolled: 1-line block ×4, first 2 shown]
	s_waitcnt lgkmcnt(0)
	v_sub_f32_e32 v51, v53, v55
	v_sub_f32_e32 v52, v54, v56
	;; [unrolled: 1-line block ×4, first 2 shown]
	v_add_u32_e32 v1, 0x540, v0
	v_add_u32_e32 v2, 0x620, v0
	v_and_b32_e32 v23, 1, v164
	v_fma_f32 v17, v35, 2.0, -v19
	v_fma_f32 v18, v36, 2.0, -v20
	v_fma_f32 v37, v37, 2.0, -v39
	v_fma_f32 v38, v38, 2.0, -v40
	v_fma_f32 v49, v53, 2.0, -v51
	v_fma_f32 v50, v54, 2.0, -v52
	v_fma_f32 v53, v9, 2.0, -v55
	v_fma_f32 v54, v10, 2.0, -v56
	s_barrier
	ds_write_b128 v165, v[11:14]
	ds_write_b128 v166, v[3:6]
	v_lshl_add_u32 v167, v24, 4, v220
	v_lshl_add_u32 v168, v16, 4, v220
	;; [unrolled: 1-line block ×6, first 2 shown]
	v_lshlrev_b32_e32 v3, 3, v23
	ds_write_b128 v167, v[17:20]
	ds_write_b128 v168, v[37:40]
	;; [unrolled: 1-line block ×7, first 2 shown]
	s_waitcnt lgkmcnt(0)
	s_barrier
	global_load_dwordx2 v[135:136], v3, s[14:15]
	ds_read2_b64 v[10:13], v161 offset1:112
	ds_read2_b64 v[17:20], v26 offset0:128 offset1:240
	ds_read2_b64 v[35:38], v25 offset0:96 offset1:208
	;; [unrolled: 1-line block ×7, first 2 shown]
	ds_read2_b64 v[59:62], v30 offset1:112
	s_movk_i32 s1, 0xfc
	v_lshlrev_b32_e32 v9, 1, v8
	v_lshlrev_b32_e32 v7, 1, v24
	s_waitcnt vmcnt(0) lgkmcnt(0)
	s_barrier
	v_lshlrev_b32_e32 v6, 1, v16
	v_lshlrev_b32_e32 v5, 1, v33
	;; [unrolled: 1-line block ×3, first 2 shown]
	s_movk_i32 s2, 0x5fc
	v_lshlrev_b32_e32 v3, 1, v162
	v_mul_f32_e32 v14, v20, v136
	v_fma_f32 v14, v19, v135, -v14
	v_mul_f32_e32 v15, v19, v136
	v_mul_f32_e32 v19, v36, v136
	v_fmac_f32_e32 v15, v20, v135
	v_fma_f32 v19, v35, v135, -v19
	v_mul_f32_e32 v20, v35, v136
	v_mul_f32_e32 v21, v38, v136
	;; [unrolled: 1-line block ×3, first 2 shown]
	v_fma_f32 v21, v37, v135, -v21
	v_mul_f32_e32 v22, v37, v136
	v_fma_f32 v37, v43, v135, -v35
	v_mul_f32_e32 v35, v46, v136
	v_fmac_f32_e32 v22, v38, v135
	v_mul_f32_e32 v38, v43, v136
	v_fma_f32 v43, v45, v135, -v35
	v_mul_f32_e32 v35, v52, v136
	v_fmac_f32_e32 v38, v44, v135
	;; [unrolled: 4-line block ×4, first 2 shown]
	v_mul_f32_e32 v52, v53, v136
	v_fma_f32 v53, v59, v135, -v35
	v_mul_f32_e32 v35, v62, v136
	v_sub_f32_e32 v21, v39, v21
	v_sub_f32_e32 v37, v41, v37
	v_fmac_f32_e32 v52, v54, v135
	v_mul_f32_e32 v54, v59, v136
	v_fma_f32 v59, v61, v135, -v35
	v_fma_f32 v35, v39, 2.0, -v21
	v_fma_f32 v39, v41, 2.0, -v37
	v_sub_f32_e32 v41, v47, v43
	v_sub_f32_e32 v45, v49, v45
	v_fma_f32 v43, v47, 2.0, -v41
	v_fma_f32 v47, v49, 2.0, -v45
	v_sub_f32_e32 v49, v55, v51
	v_sub_f32_e32 v53, v57, v53
	;; [unrolled: 1-line block ×4, first 2 shown]
	v_fma_f32 v51, v55, 2.0, -v49
	v_fma_f32 v55, v57, 2.0, -v53
	v_sub_f32_e32 v57, v17, v59
	v_and_or_b32 v59, v0, s1, v23
	v_fma_f32 v10, v10, 2.0, -v14
	v_fma_f32 v11, v11, 2.0, -v15
	v_lshl_add_u32 v174, v59, 3, v220
	s_movk_i32 s1, 0x1fc
	ds_write2_b64 v174, v[10:11], v[14:15] offset1:2
	v_and_or_b32 v10, v9, s1, v23
	s_movk_i32 s1, 0x3fc
	v_lshl_add_u32 v175, v10, 3, v220
	v_and_or_b32 v10, v7, s1, v23
	v_lshl_add_u32 v176, v10, 3, v220
	v_and_or_b32 v10, v6, s1, v23
	s_movk_i32 s1, 0x7fc
	v_lshl_add_u32 v177, v10, 3, v220
	v_and_or_b32 v10, v5, s1, v23
	v_sub_f32_e32 v22, v40, v22
	v_sub_f32_e32 v38, v42, v38
	v_lshl_add_u32 v178, v10, 3, v220
	v_and_or_b32 v10, v4, s2, v23
	v_fmac_f32_e32 v20, v36, v135
	v_fmac_f32_e32 v54, v60, v135
	v_mul_f32_e32 v60, v61, v136
	v_fma_f32 v36, v40, 2.0, -v22
	v_fma_f32 v40, v42, 2.0, -v38
	v_sub_f32_e32 v42, v48, v44
	v_sub_f32_e32 v46, v50, v46
	v_lshl_add_u32 v179, v10, 3, v220
	v_and_or_b32 v10, v1, s1, v23
	v_fmac_f32_e32 v60, v62, v135
	v_fma_f32 v44, v48, 2.0, -v42
	v_fma_f32 v48, v50, 2.0, -v46
	v_sub_f32_e32 v50, v56, v52
	v_sub_f32_e32 v54, v58, v54
	v_lshl_add_u32 v180, v10, 3, v220
	v_and_or_b32 v10, v2, s1, v23
	v_sub_f32_e32 v19, v12, v19
	v_sub_f32_e32 v20, v13, v20
	v_fma_f32 v52, v56, 2.0, -v50
	v_fma_f32 v56, v58, 2.0, -v54
	v_sub_f32_e32 v58, v18, v60
	v_lshl_add_u32 v181, v10, 3, v220
	v_and_or_b32 v10, v3, s1, v23
	v_and_b32_e32 v23, 3, v164
	v_fma_f32 v12, v12, 2.0, -v19
	v_fma_f32 v13, v13, 2.0, -v20
	v_fma_f32 v17, v17, 2.0, -v57
	v_fma_f32 v18, v18, 2.0, -v58
	v_lshl_add_u32 v182, v10, 3, v220
	v_lshlrev_b32_e32 v10, 3, v23
	ds_write2_b64 v175, v[12:13], v[19:20] offset1:2
	ds_write2_b64 v176, v[35:36], v[21:22] offset1:2
	;; [unrolled: 1-line block ×8, first 2 shown]
	s_waitcnt lgkmcnt(0)
	s_barrier
	global_load_dwordx2 v[137:138], v10, s[14:15] offset:16
	ds_read2_b64 v[10:13], v161 offset1:112
	ds_read2_b64 v[17:20], v26 offset0:128 offset1:240
	ds_read2_b64 v[35:38], v25 offset0:96 offset1:208
	ds_read2_b64 v[39:42], v27 offset0:96 offset1:208
	ds_read2_b64 v[43:46], v29 offset0:64 offset1:176
	ds_read2_b64 v[47:50], v31 offset0:32 offset1:144
	ds_read2_b64 v[51:54], v30 offset1:112
	s_movk_i32 s1, 0xf8
	s_movk_i32 s2, 0x5f8
	s_waitcnt vmcnt(0) lgkmcnt(5)
	v_mul_f32_e32 v14, v20, v138
	v_fma_f32 v14, v19, v137, -v14
	v_mul_f32_e32 v15, v19, v138
	s_waitcnt lgkmcnt(4)
	v_mul_f32_e32 v19, v36, v138
	v_fmac_f32_e32 v15, v20, v137
	v_fma_f32 v19, v35, v137, -v19
	v_mul_f32_e32 v20, v35, v138
	s_waitcnt lgkmcnt(2)
	v_mul_f32_e32 v35, v44, v138
	v_fma_f32 v55, v43, v137, -v35
	v_mul_f32_e32 v35, v46, v138
	v_fma_f32 v57, v45, v137, -v35
	s_waitcnt lgkmcnt(1)
	v_mul_f32_e32 v35, v48, v138
	v_fma_f32 v59, v47, v137, -v35
	v_mul_f32_e32 v35, v50, v138
	v_fmac_f32_e32 v20, v36, v137
	v_mul_f32_e32 v21, v38, v138
	v_mul_f32_e32 v22, v37, v138
	v_fma_f32 v61, v49, v137, -v35
	s_waitcnt lgkmcnt(0)
	v_mul_f32_e32 v35, v52, v138
	v_fma_f32 v21, v37, v137, -v21
	v_fmac_f32_e32 v22, v38, v137
	v_mul_f32_e32 v56, v43, v138
	v_fma_f32 v63, v51, v137, -v35
	v_mul_f32_e32 v35, v54, v138
	v_sub_f32_e32 v14, v10, v14
	v_sub_f32_e32 v15, v11, v15
	;; [unrolled: 1-line block ×4, first 2 shown]
	v_fmac_f32_e32 v56, v44, v137
	v_fma_f32 v65, v53, v137, -v35
	v_fma_f32 v35, v10, 2.0, -v14
	v_fma_f32 v36, v11, 2.0, -v15
	;; [unrolled: 1-line block ×4, first 2 shown]
	ds_read2_b64 v[10:13], v28 offset0:64 offset1:176
	v_mul_f32_e32 v64, v51, v138
	v_mul_f32_e32 v58, v45, v138
	v_fmac_f32_e32 v58, v46, v137
	v_sub_f32_e32 v45, v39, v21
	s_waitcnt lgkmcnt(0)
	v_sub_f32_e32 v51, v12, v59
	v_and_or_b32 v59, v0, s1, v23
	v_lshl_add_u32 v183, v59, 3, v220
	s_movk_i32 s1, 0x1f8
	v_sub_f32_e32 v46, v40, v22
	ds_read2_b64 v[19:22], v34 offset0:32 offset1:144
	s_waitcnt lgkmcnt(0)
	s_barrier
	ds_write2_b64 v183, v[35:36], v[14:15] offset1:4
	v_and_or_b32 v14, v9, s1, v23
	s_movk_i32 s1, 0x3f8
	v_lshl_add_u32 v184, v14, 3, v220
	v_and_or_b32 v14, v7, s1, v23
	v_mul_f32_e32 v60, v47, v138
	v_mul_f32_e32 v62, v49, v138
	v_lshl_add_u32 v185, v14, 3, v220
	v_and_or_b32 v14, v6, s1, v23
	s_movk_i32 s1, 0x7f8
	v_fmac_f32_e32 v60, v48, v137
	v_fmac_f32_e32 v62, v50, v137
	v_sub_f32_e32 v47, v41, v55
	v_sub_f32_e32 v48, v42, v56
	;; [unrolled: 1-line block ×4, first 2 shown]
	v_lshl_add_u32 v186, v14, 3, v220
	v_and_or_b32 v14, v5, s1, v23
	v_fma_f32 v39, v39, 2.0, -v45
	v_fma_f32 v40, v40, 2.0, -v46
	;; [unrolled: 1-line block ×6, first 2 shown]
	v_lshl_add_u32 v187, v14, 3, v220
	ds_write2_b64 v184, v[43:44], v[37:38] offset1:4
	ds_write2_b64 v185, v[39:40], v[45:46] offset1:4
	;; [unrolled: 1-line block ×4, first 2 shown]
	v_and_or_b32 v10, v4, s2, v23
	v_mul_f32_e32 v66, v53, v138
	v_lshl_add_u32 v188, v10, 3, v220
	v_and_or_b32 v10, v1, s1, v23
	v_fmac_f32_e32 v64, v52, v137
	v_fmac_f32_e32 v66, v54, v137
	v_lshl_add_u32 v189, v10, 3, v220
	v_and_or_b32 v10, v2, s1, v23
	v_sub_f32_e32 v52, v13, v60
	v_sub_f32_e32 v53, v19, v61
	;; [unrolled: 1-line block ×7, first 2 shown]
	v_lshl_add_u32 v190, v10, 3, v220
	v_and_or_b32 v10, v3, s1, v23
	v_and_b32_e32 v23, 7, v164
	v_fma_f32 v12, v12, 2.0, -v51
	v_fma_f32 v13, v13, 2.0, -v52
	;; [unrolled: 1-line block ×8, first 2 shown]
	v_lshl_add_u32 v191, v10, 3, v220
	v_lshlrev_b32_e32 v10, 3, v23
	ds_write2_b64 v188, v[12:13], v[51:52] offset1:4
	ds_write2_b64 v189, v[19:20], v[53:54] offset1:4
	;; [unrolled: 1-line block ×4, first 2 shown]
	s_waitcnt lgkmcnt(0)
	s_barrier
	global_load_dwordx2 v[139:140], v10, s[14:15] offset:48
	ds_read2_b64 v[10:13], v25 offset0:96 offset1:208
	ds_read2_b64 v[17:20], v29 offset0:64 offset1:176
	;; [unrolled: 1-line block ×3, first 2 shown]
	ds_read2_b64 v[39:42], v30 offset1:112
	s_movk_i32 s1, 0xf0
	v_and_or_b32 v59, v0, s1, v23
	v_lshl_add_u32 v193, v59, 3, v220
	s_movk_i32 s1, 0x1f0
	s_movk_i32 s2, 0x5f0
	v_lshrrev_b32_e32 v63, 5, v164
	v_mul_u32_u24_e32 v63, 0x60, v63
	s_waitcnt vmcnt(0) lgkmcnt(3)
	v_mul_f32_e32 v14, v11, v140
	v_fma_f32 v14, v10, v139, -v14
	v_mul_f32_e32 v15, v10, v140
	v_mul_f32_e32 v10, v13, v140
	v_fma_f32 v43, v12, v139, -v10
	s_waitcnt lgkmcnt(2)
	v_mul_f32_e32 v10, v18, v140
	v_fma_f32 v45, v17, v139, -v10
	v_mul_f32_e32 v10, v20, v140
	v_fma_f32 v49, v19, v139, -v10
	s_waitcnt lgkmcnt(1)
	v_mul_f32_e32 v10, v36, v140
	v_fma_f32 v51, v35, v139, -v10
	v_mul_f32_e32 v10, v38, v140
	v_mul_f32_e32 v44, v12, v140
	v_fma_f32 v53, v37, v139, -v10
	s_waitcnt lgkmcnt(0)
	v_mul_f32_e32 v10, v40, v140
	v_fmac_f32_e32 v15, v11, v139
	v_fmac_f32_e32 v44, v13, v139
	v_fma_f32 v55, v39, v139, -v10
	ds_read2_b64 v[10:13], v26 offset0:128 offset1:240
	v_mul_f32_e32 v46, v17, v140
	v_mul_f32_e32 v50, v19, v140
	;; [unrolled: 1-line block ×3, first 2 shown]
	v_fmac_f32_e32 v46, v18, v139
	v_fmac_f32_e32 v50, v20, v139
	v_fma_f32 v57, v41, v139, -v17
	ds_read2_b64 v[17:20], v161 offset1:112
	s_waitcnt lgkmcnt(1)
	v_mul_f32_e32 v21, v13, v140
	v_fma_f32 v21, v12, v139, -v21
	v_mul_f32_e32 v12, v12, v140
	v_mul_f32_e32 v52, v35, v140
	v_fmac_f32_e32 v12, v13, v139
	v_fmac_f32_e32 v52, v36, v139
	s_waitcnt lgkmcnt(0)
	v_sub_f32_e32 v22, v18, v12
	v_sub_f32_e32 v35, v19, v14
	;; [unrolled: 1-line block ×3, first 2 shown]
	ds_read2_b64 v[12:15], v27 offset0:96 offset1:208
	v_mul_f32_e32 v54, v37, v140
	v_mul_f32_e32 v56, v39, v140
	v_sub_f32_e32 v21, v17, v21
	v_fmac_f32_e32 v54, v38, v139
	v_fmac_f32_e32 v56, v40, v139
	v_mul_f32_e32 v58, v41, v140
	v_fma_f32 v37, v17, 2.0, -v21
	v_fma_f32 v38, v18, 2.0, -v22
	;; [unrolled: 1-line block ×4, first 2 shown]
	ds_read2_b64 v[17:20], v28 offset0:64 offset1:176
	v_fmac_f32_e32 v58, v42, v139
	s_waitcnt lgkmcnt(1)
	v_sub_f32_e32 v41, v12, v43
	v_sub_f32_e32 v42, v13, v44
	;; [unrolled: 1-line block ×4, first 2 shown]
	v_fma_f32 v45, v12, 2.0, -v41
	v_fma_f32 v46, v13, 2.0, -v42
	;; [unrolled: 1-line block ×4, first 2 shown]
	ds_read2_b64 v[12:15], v34 offset0:32 offset1:144
	s_waitcnt lgkmcnt(0)
	s_barrier
	ds_write2_b64 v193, v[37:38], v[21:22] offset1:8
	v_and_or_b32 v21, v9, s1, v23
	s_movk_i32 s1, 0x3f0
	v_lshl_add_u32 v194, v21, 3, v220
	v_and_or_b32 v21, v7, s1, v23
	v_lshl_add_u32 v195, v21, 3, v220
	v_and_or_b32 v21, v6, s1, v23
	s_movk_i32 s1, 0x7f0
	v_sub_f32_e32 v49, v17, v49
	v_sub_f32_e32 v50, v18, v50
	v_lshl_add_u32 v196, v21, 3, v220
	v_and_or_b32 v21, v5, s1, v23
	v_fma_f32 v17, v17, 2.0, -v49
	v_fma_f32 v18, v18, 2.0, -v50
	v_lshl_add_u32 v197, v21, 3, v220
	ds_write2_b64 v194, v[39:40], v[35:36] offset1:8
	ds_write2_b64 v195, v[45:46], v[41:42] offset1:8
	;; [unrolled: 1-line block ×4, first 2 shown]
	v_and_or_b32 v17, v4, s2, v23
	v_sub_f32_e32 v51, v19, v51
	v_sub_f32_e32 v52, v20, v52
	;; [unrolled: 1-line block ×4, first 2 shown]
	v_lshl_add_u32 v198, v17, 3, v220
	v_and_or_b32 v17, v1, s1, v23
	v_fma_f32 v19, v19, 2.0, -v51
	v_fma_f32 v20, v20, 2.0, -v52
	;; [unrolled: 1-line block ×4, first 2 shown]
	v_lshl_add_u32 v199, v17, 3, v220
	ds_write2_b64 v198, v[19:20], v[51:52] offset1:8
	ds_write2_b64 v199, v[12:13], v[53:54] offset1:8
	v_and_or_b32 v12, v2, s1, v23
	v_sub_f32_e32 v55, v14, v55
	v_sub_f32_e32 v56, v15, v56
	;; [unrolled: 1-line block ×4, first 2 shown]
	v_lshl_add_u32 v201, v12, 3, v220
	v_and_or_b32 v12, v3, s1, v23
	v_fma_f32 v14, v14, 2.0, -v55
	v_fma_f32 v15, v15, 2.0, -v56
	;; [unrolled: 1-line block ×4, first 2 shown]
	v_lshl_add_u32 v202, v12, 3, v220
	v_and_b32_e32 v23, 15, v164
	ds_write2_b64 v201, v[14:15], v[55:56] offset1:8
	ds_write2_b64 v202, v[10:11], v[57:58] offset1:8
	v_lshlrev_b32_e32 v10, 3, v23
	s_waitcnt lgkmcnt(0)
	s_barrier
	global_load_dwordx2 v[141:142], v10, s[14:15] offset:112
	ds_read2_b64 v[10:13], v25 offset0:96 offset1:208
	ds_read2_b64 v[17:20], v29 offset0:64 offset1:176
	v_and_or_b32 v0, v0, s0, v23
	s_movk_i32 s0, 0x1e0
	v_lshl_add_u32 v203, v0, 3, v220
	v_and_or_b32 v0, v9, s0, v23
	s_movk_i32 s0, 0x3e0
	v_lshl_add_u32 v204, v0, 3, v220
	v_and_or_b32 v0, v7, s0, v23
	v_lshl_add_u32 v205, v0, 3, v220
	v_and_or_b32 v0, v6, s0, v23
	s_movk_i32 s0, 0x7e0
	v_lshl_add_u32 v206, v0, 3, v220
	v_and_or_b32 v0, v5, s0, v23
	s_movk_i32 s1, 0x5e0
	v_lshl_add_u32 v207, v0, 3, v220
	v_and_or_b32 v0, v4, s1, v23
	v_lshl_add_u32 v208, v0, 3, v220
	v_and_or_b32 v0, v1, s0, v23
	;; [unrolled: 2-line block ×4, first 2 shown]
	v_lshl_add_u32 v211, v0, 3, v220
	v_and_b32_e32 v23, 31, v8
	v_lshlrev_b32_e32 v4, 4, v23
	s_movk_i32 s0, 0xffa0
	s_movk_i32 s2, 0x60
	s_waitcnt vmcnt(0) lgkmcnt(1)
	v_mul_f32_e32 v14, v11, v142
	v_fma_f32 v14, v10, v141, -v14
	v_mul_f32_e32 v15, v10, v142
	v_mul_f32_e32 v10, v13, v142
	v_fma_f32 v41, v12, v141, -v10
	v_mul_f32_e32 v42, v12, v142
	s_waitcnt lgkmcnt(0)
	v_mul_f32_e32 v10, v18, v142
	v_fmac_f32_e32 v15, v11, v141
	v_fmac_f32_e32 v42, v13, v141
	v_fma_f32 v43, v17, v141, -v10
	ds_read2_b64 v[10:13], v31 offset0:32 offset1:144
	v_mul_f32_e32 v44, v17, v142
	v_mul_f32_e32 v17, v20, v142
	v_fma_f32 v49, v19, v141, -v17
	v_mul_f32_e32 v50, v19, v142
	s_waitcnt lgkmcnt(0)
	v_mul_f32_e32 v17, v11, v142
	v_fmac_f32_e32 v44, v18, v141
	v_fmac_f32_e32 v50, v20, v141
	v_fma_f32 v51, v10, v141, -v17
	ds_read2_b64 v[17:20], v30 offset1:112
	v_mul_f32_e32 v52, v10, v142
	v_mul_f32_e32 v10, v13, v142
	v_fma_f32 v53, v12, v141, -v10
	v_mul_f32_e32 v54, v12, v142
	s_waitcnt lgkmcnt(0)
	v_mul_f32_e32 v10, v18, v142
	v_fmac_f32_e32 v52, v11, v141
	v_fmac_f32_e32 v54, v13, v141
	v_fma_f32 v55, v17, v141, -v10
	ds_read2_b64 v[10:13], v26 offset0:128 offset1:240
	v_mul_f32_e32 v56, v17, v142
	v_mul_f32_e32 v17, v20, v142
	;; [unrolled: 1-line block ×3, first 2 shown]
	v_fmac_f32_e32 v56, v18, v141
	v_fma_f32 v57, v19, v141, -v17
	v_fmac_f32_e32 v58, v20, v141
	ds_read2_b64 v[17:20], v161 offset1:112
	s_waitcnt lgkmcnt(1)
	v_mul_f32_e32 v21, v13, v142
	v_fma_f32 v21, v12, v141, -v21
	v_mul_f32_e32 v12, v12, v142
	v_fmac_f32_e32 v12, v13, v141
	s_waitcnt lgkmcnt(0)
	v_sub_f32_e32 v22, v18, v12
	v_sub_f32_e32 v35, v19, v14
	;; [unrolled: 1-line block ×3, first 2 shown]
	ds_read2_b64 v[12:15], v27 offset0:96 offset1:208
	v_sub_f32_e32 v21, v17, v21
	v_fma_f32 v37, v17, 2.0, -v21
	v_fma_f32 v38, v18, 2.0, -v22
	v_fma_f32 v39, v19, 2.0, -v35
	s_waitcnt lgkmcnt(0)
	v_sub_f32_e32 v41, v12, v41
	v_sub_f32_e32 v42, v13, v42
	;; [unrolled: 1-line block ×4, first 2 shown]
	v_fma_f32 v40, v20, 2.0, -v36
	ds_read2_b64 v[17:20], v28 offset0:64 offset1:176
	v_fma_f32 v45, v12, 2.0, -v41
	v_fma_f32 v46, v13, 2.0, -v42
	;; [unrolled: 1-line block ×4, first 2 shown]
	ds_read2_b64 v[12:15], v34 offset0:32 offset1:144
	s_waitcnt lgkmcnt(1)
	v_sub_f32_e32 v49, v17, v49
	v_sub_f32_e32 v50, v18, v50
	;; [unrolled: 1-line block ×4, first 2 shown]
	s_waitcnt lgkmcnt(0)
	v_sub_f32_e32 v53, v12, v53
	v_sub_f32_e32 v54, v13, v54
	;; [unrolled: 1-line block ×4, first 2 shown]
	v_fma_f32 v17, v17, 2.0, -v49
	v_fma_f32 v18, v18, 2.0, -v50
	;; [unrolled: 1-line block ×8, first 2 shown]
	v_sub_f32_e32 v57, v10, v57
	v_sub_f32_e32 v58, v11, v58
	s_barrier
	ds_write2_b64 v203, v[37:38], v[21:22] offset1:16
	ds_write2_b64 v204, v[39:40], v[35:36] offset1:16
	;; [unrolled: 1-line block ×8, first 2 shown]
	v_and_b32_e32 v15, 31, v164
	v_fma_f32 v10, v10, 2.0, -v57
	v_fma_f32 v11, v11, 2.0, -v58
	v_lshlrev_b32_e32 v0, 4, v15
	ds_write2_b64 v211, v[10:11], v[57:58] offset1:16
	s_waitcnt lgkmcnt(0)
	s_barrier
	global_load_dwordx4 v[0:3], v0, s[14:15] offset:240
	v_and_b32_e32 v39, 31, v32
	v_lshlrev_b32_e32 v9, 4, v39
	global_load_dwordx2 v[145:146], v9, s[14:15] offset:240
	global_load_dword v213, v4, s[14:15] offset:240
	global_load_dwordx2 v[143:144], v9, s[14:15] offset:248
	global_load_dwordx2 v[147:148], v9, s[14:15] offset:244
	v_and_b32_e32 v40, 31, v16
	v_lshlrev_b32_e32 v4, 4, v40
	global_load_dwordx4 v[4:7], v4, s[14:15] offset:240
	s_nop 0
	global_load_dword v212, v9, s[14:15] offset:252
	ds_read2_b64 v[9:12], v34 offset0:32 offset1:144
	ds_read2_b64 v[17:20], v29 offset0:64 offset1:176
	v_or_b32_e32 v63, v63, v15
	v_lshl_add_u32 v214, v63, 3, v220
	s_waitcnt vmcnt(6) lgkmcnt(1)
	v_mul_f32_e32 v13, v10, v1
	v_fma_f32 v21, v9, v0, -v13
	v_mul_f32_e32 v22, v9, v1
	s_waitcnt vmcnt(5)
	v_mul_f32_e32 v9, v12, v146
	s_waitcnt vmcnt(4)
	v_fma_f32 v41, v11, v213, -v9
	v_mul_f32_e32 v42, v11, v146
	s_waitcnt lgkmcnt(0)
	v_mul_f32_e32 v9, v18, v3
	v_fmac_f32_e32 v22, v10, v0
	v_fmac_f32_e32 v42, v12, v213
	v_fma_f32 v35, v17, v2, -v9
	ds_read2_b64 v[9:12], v26 offset0:128 offset1:240
	v_mul_f32_e32 v36, v17, v3
	s_waitcnt vmcnt(3)
	v_mul_f32_e32 v13, v20, v144
	v_mul_f32_e32 v44, v19, v144
	v_fmac_f32_e32 v36, v18, v2
	s_waitcnt vmcnt(2)
	v_fma_f32 v43, v19, v148, -v13
	v_fmac_f32_e32 v44, v20, v148
	ds_read2_b64 v[17:20], v31 offset0:32 offset1:144
	s_waitcnt lgkmcnt(1)
	v_mul_f32_e32 v13, v10, v1
	v_fma_f32 v45, v9, v0, -v13
	v_mul_f32_e32 v46, v9, v1
	s_waitcnt vmcnt(1)
	v_mul_f32_e32 v9, v12, v5
	v_fma_f32 v47, v11, v4, -v9
	v_mul_f32_e32 v48, v11, v5
	s_waitcnt lgkmcnt(0)
	v_mul_f32_e32 v9, v18, v3
	v_fmac_f32_e32 v46, v10, v0
	v_fmac_f32_e32 v48, v12, v4
	v_fma_f32 v49, v17, v2, -v9
	ds_read2_b64 v[9:12], v25 offset0:96 offset1:208
	v_mul_f32_e32 v50, v17, v3
	v_mul_f32_e32 v13, v20, v7
	;; [unrolled: 1-line block ×3, first 2 shown]
	v_fmac_f32_e32 v50, v18, v2
	v_fma_f32 v51, v19, v6, -v13
	v_fmac_f32_e32 v52, v20, v6
	ds_read2_b64 v[17:20], v30 offset1:112
	s_waitcnt lgkmcnt(1)
	v_mul_f32_e32 v13, v10, v1
	v_fma_f32 v53, v9, v0, -v13
	v_mul_f32_e32 v54, v9, v1
	v_mul_f32_e32 v9, v12, v147
	v_fma_f32 v55, v11, v145, -v9
	v_mul_f32_e32 v56, v11, v147
	s_waitcnt lgkmcnt(0)
	v_mul_f32_e32 v9, v18, v3
	v_fmac_f32_e32 v54, v10, v0
	v_fmac_f32_e32 v56, v12, v145
	v_fma_f32 v57, v17, v2, -v9
	ds_read2_b64 v[9:12], v161 offset1:112
	v_mul_f32_e32 v58, v17, v3
	v_fmac_f32_e32 v58, v18, v2
	s_waitcnt vmcnt(0)
	v_mul_f32_e32 v13, v20, v212
	v_add_f32_e32 v17, v22, v36
	v_add_f32_e32 v18, v21, v35
	v_fma_f32 v59, v19, v143, -v13
	s_waitcnt lgkmcnt(0)
	v_add_f32_e32 v13, v9, v21
	v_add_f32_e32 v14, v10, v22
	v_fma_f32 v9, -0.5, v18, v9
	v_fma_f32 v10, -0.5, v17, v10
	v_sub_f32_e32 v61, v22, v36
	v_sub_f32_e32 v62, v21, v35
	v_mov_b32_e32 v21, v9
	v_mov_b32_e32 v22, v10
	v_mul_f32_e32 v60, v19, v212
	v_add_f32_e32 v13, v13, v35
	v_add_f32_e32 v14, v14, v36
	v_fmac_f32_e32 v21, 0x3f5db3d7, v61
	v_fmac_f32_e32 v22, 0xbf5db3d7, v62
	;; [unrolled: 1-line block ×5, first 2 shown]
	ds_read2_b64 v[17:20], v27 offset0:96 offset1:208
	ds_read2_b64 v[35:38], v28 offset0:64 offset1:176
	s_waitcnt lgkmcnt(0)
	s_barrier
	ds_write2_b64 v214, v[13:14], v[21:22] offset1:32
	ds_write_b64 v214, v[9:10] offset:512
	v_add_f32_e32 v10, v41, v43
	v_add_f32_e32 v13, v42, v44
	;; [unrolled: 1-line block ×3, first 2 shown]
	v_fma_f32 v11, -0.5, v10, v11
	v_add_f32_e32 v10, v12, v42
	v_fmac_f32_e32 v12, -0.5, v13
	v_lshrrev_b32_e32 v13, 5, v8
	v_mul_u32_u24_e32 v13, 0x60, v13
	v_sub_f32_e32 v21, v42, v44
	v_sub_f32_e32 v22, v41, v43
	v_or_b32_e32 v23, v13, v23
	v_mov_b32_e32 v13, v11
	v_mov_b32_e32 v14, v12
	v_lshl_add_u32 v215, v23, 3, v220
	v_fmac_f32_e32 v11, 0xbf5db3d7, v21
	v_fmac_f32_e32 v12, 0x3f5db3d7, v22
	v_add_f32_e32 v9, v9, v43
	v_add_f32_e32 v10, v10, v44
	v_fmac_f32_e32 v13, 0x3f5db3d7, v21
	v_fmac_f32_e32 v14, 0xbf5db3d7, v22
	ds_write_b64 v215, v[11:12] offset:512
	v_add_f32_e32 v12, v46, v50
	ds_write2_b64 v215, v[9:10], v[13:14] offset1:32
	v_add_f32_e32 v10, v18, v46
	v_add_f32_e32 v11, v45, v49
	v_fma_f32 v12, -0.5, v12, v18
	v_lshrrev_b32_e32 v18, 5, v24
	v_fma_f32 v11, -0.5, v11, v17
	v_mul_u32_u24_e32 v18, 0x60, v18
	v_add_f32_e32 v9, v17, v45
	v_sub_f32_e32 v21, v46, v50
	v_sub_f32_e32 v17, v45, v49
	v_mov_b32_e32 v13, v11
	v_mov_b32_e32 v14, v12
	v_or_b32_e32 v18, v18, v15
	v_add_f32_e32 v9, v9, v49
	v_add_f32_e32 v10, v10, v50
	v_fmac_f32_e32 v13, 0x3f5db3d7, v21
	v_fmac_f32_e32 v14, 0xbf5db3d7, v17
	v_lshl_add_u32 v216, v18, 3, v220
	v_fmac_f32_e32 v11, 0xbf5db3d7, v21
	v_fmac_f32_e32 v12, 0x3f5db3d7, v17
	ds_write2_b64 v216, v[9:10], v[13:14] offset1:32
	ds_write_b64 v216, v[11:12] offset:512
	v_add_f32_e32 v10, v47, v51
	v_add_f32_e32 v11, v48, v52
	;; [unrolled: 1-line block ×3, first 2 shown]
	v_fma_f32 v19, -0.5, v10, v19
	v_add_f32_e32 v10, v20, v48
	v_fmac_f32_e32 v20, -0.5, v11
	v_lshrrev_b32_e32 v11, 5, v16
	v_mul_u32_u24_e32 v11, 0x60, v11
	v_sub_f32_e32 v13, v48, v52
	v_sub_f32_e32 v14, v47, v51
	v_or_b32_e32 v17, v11, v40
	v_mov_b32_e32 v11, v19
	v_mov_b32_e32 v12, v20
	v_add_f32_e32 v9, v9, v51
	v_add_f32_e32 v10, v10, v52
	v_fmac_f32_e32 v11, 0x3f5db3d7, v13
	v_fmac_f32_e32 v12, 0xbf5db3d7, v14
	v_lshl_add_u32 v217, v17, 3, v220
	ds_write2_b64 v217, v[9:10], v[11:12] offset1:32
	v_fmac_f32_e32 v19, 0xbf5db3d7, v13
	v_add_f32_e32 v12, v54, v58
	v_add_f32_e32 v11, v53, v57
	v_lshrrev_b32_e32 v13, 5, v33
	v_fma_f32 v11, -0.5, v11, v35
	v_fma_f32 v12, -0.5, v12, v36
	v_mul_u32_u24_e32 v13, 0x60, v13
	v_fmac_f32_e32 v20, 0x3f5db3d7, v14
	v_add_f32_e32 v9, v35, v53
	v_add_f32_e32 v10, v36, v54
	v_sub_f32_e32 v17, v54, v58
	v_sub_f32_e32 v18, v53, v57
	v_or_b32_e32 v15, v13, v15
	v_mov_b32_e32 v13, v11
	v_mov_b32_e32 v14, v12
	v_add_f32_e32 v9, v9, v57
	v_add_f32_e32 v10, v10, v58
	v_fmac_f32_e32 v13, 0x3f5db3d7, v17
	v_fmac_f32_e32 v14, 0xbf5db3d7, v18
	v_lshl_add_u32 v218, v15, 3, v220
	v_fmac_f32_e32 v11, 0xbf5db3d7, v17
	v_fmac_f32_e32 v12, 0x3f5db3d7, v18
	ds_write_b64 v217, v[19:20] offset:512
	ds_write2_b64 v218, v[9:10], v[13:14] offset1:32
	ds_write_b64 v218, v[11:12] offset:512
	v_add_f32_e32 v10, v55, v59
	v_add_f32_e32 v11, v56, v60
	v_add_f32_e32 v9, v37, v55
	v_fma_f32 v37, -0.5, v10, v37
	v_add_f32_e32 v10, v38, v56
	v_fmac_f32_e32 v38, -0.5, v11
	v_lshrrev_b32_e32 v11, 5, v32
	v_mul_u32_u24_e32 v11, 0x60, v11
	v_sub_f32_e32 v13, v56, v60
	v_sub_f32_e32 v14, v55, v59
	v_or_b32_e32 v15, v11, v39
	v_mov_b32_e32 v11, v37
	v_mov_b32_e32 v12, v38
	v_add_f32_e32 v9, v9, v59
	v_add_f32_e32 v10, v10, v60
	v_fmac_f32_e32 v11, 0x3f5db3d7, v13
	v_fmac_f32_e32 v12, 0xbf5db3d7, v14
	v_lshl_add_u32 v219, v15, 3, v220
	ds_write2_b64 v219, v[9:10], v[11:12] offset1:32
	v_add_co_u32_e32 v9, vcc, s0, v164
	v_addc_co_u32_e64 v10, s[0:1], 0, -1, vcc
	v_cmp_gt_u16_e32 vcc, s2, v164
	s_movk_i32 s0, 0xab
	v_cndmask_b32_e64 v49, v10, 0, vcc
	v_cndmask_b32_e32 v48, v9, v164, vcc
	v_mul_lo_u16_sdwa v11, v8, s0 dst_sel:DWORD dst_unused:UNUSED_PAD src0_sel:BYTE_0 src1_sel:DWORD
	s_mov_b32 s0, 0xaaab
	v_lshlrev_b64 v[9:10], 4, v[48:49]
	v_lshrrev_b16_e32 v50, 14, v11
	v_mul_u32_u24_sdwa v17, v16, s0 dst_sel:DWORD dst_unused:UNUSED_PAD src0_sel:WORD_0 src1_sel:DWORD
	v_mul_lo_u16_e32 v11, 0x60, v50
	v_lshrrev_b32_e32 v52, 22, v17
	v_mov_b32_e32 v35, s15
	v_add_co_u32_e32 v9, vcc, s14, v9
	v_sub_u16_e32 v51, v8, v11
	v_mov_b32_e32 v8, 4
	v_mul_lo_u16_e32 v17, 0x60, v52
	v_fmac_f32_e32 v37, 0xbf5db3d7, v13
	v_fmac_f32_e32 v38, 0x3f5db3d7, v14
	v_addc_co_u32_e32 v10, vcc, v35, v10, vcc
	v_lshlrev_b32_sdwa v8, v8, v51 dst_sel:DWORD dst_unused:UNUSED_PAD src0_sel:DWORD src1_sel:BYTE_0
	v_sub_u16_e32 v53, v16, v17
	v_mul_u32_u24_sdwa v16, v24, s0 dst_sel:DWORD dst_unused:UNUSED_PAD src0_sel:WORD_0 src1_sel:DWORD
	ds_write_b64 v219, v[37:38] offset:512
	s_waitcnt lgkmcnt(0)
	s_barrier
	global_load_dwordx4 v[12:15], v[9:10], off offset:752
	s_nop 0
	global_load_dwordx4 v[8:11], v8, s[14:15] offset:752
	v_lshrrev_b32_e32 v54, 22, v16
	v_mul_lo_u16_e32 v16, 0x60, v54
	v_sub_u16_e32 v55, v24, v16
	v_lshlrev_b16_e32 v16, 4, v55
	v_add_co_u32_e32 v16, vcc, s14, v16
	v_addc_co_u32_e32 v17, vcc, 0, v35, vcc
	v_lshlrev_b16_e32 v18, 4, v53
	v_mul_u32_u24_sdwa v36, v33, s0 dst_sel:DWORD dst_unused:UNUSED_PAD src0_sel:WORD_0 src1_sel:DWORD
	global_load_dwordx4 v[20:23], v[16:17], off offset:752
	v_add_co_u32_e32 v16, vcc, s14, v18
	v_lshrrev_b32_e32 v56, 22, v36
	v_addc_co_u32_e32 v17, vcc, 0, v35, vcc
	v_mul_lo_u16_e32 v36, 0x60, v56
	global_load_dwordx4 v[16:19], v[16:17], off offset:752
	v_sub_u16_e32 v57, v33, v36
	v_mul_u32_u24_sdwa v33, v32, s0 dst_sel:DWORD dst_unused:UNUSED_PAD src0_sel:WORD_0 src1_sel:DWORD
	v_lshrrev_b32_e32 v58, 22, v33
	v_mul_lo_u16_e32 v33, 0x60, v58
	v_sub_u16_e32 v59, v32, v33
	v_lshlrev_b16_e32 v32, 4, v57
	v_add_co_u32_e32 v32, vcc, s14, v32
	v_addc_co_u32_e32 v33, vcc, 0, v35, vcc
	global_load_dwordx4 v[40:43], v[32:33], off offset:752
	v_lshlrev_b16_e32 v36, 4, v59
	v_add_co_u32_e32 v32, vcc, s14, v36
	v_addc_co_u32_e32 v33, vcc, 0, v35, vcc
	global_load_dwordx4 v[36:39], v[32:33], off offset:752
	ds_read2_b64 v[32:35], v34 offset0:32 offset1:144
	s_movk_i32 s0, 0x5f
	v_cmp_lt_u16_e32 vcc, s0, v164
	s_movk_i32 s0, 0x120
	s_load_dwordx2 s[2:3], s[4:5], 0x38
	s_waitcnt vmcnt(5) lgkmcnt(0)
	v_mul_f32_e32 v44, v33, v13
	v_fma_f32 v49, v32, v12, -v44
	ds_read2_b64 v[44:47], v29 offset0:64 offset1:176
	v_mul_f32_e32 v60, v32, v13
	s_waitcnt vmcnt(4)
	v_mul_f32_e32 v29, v35, v9
	v_mul_f32_e32 v62, v34, v9
	v_fmac_f32_e32 v60, v33, v12
	v_fma_f32 v61, v34, v8, -v29
	v_fmac_f32_e32 v62, v35, v8
	ds_read2_b64 v[32:35], v26 offset0:128 offset1:240
	s_waitcnt lgkmcnt(1)
	v_mul_f32_e32 v29, v45, v15
	v_fma_f32 v63, v44, v14, -v29
	v_mul_f32_e32 v64, v44, v15
	v_mul_f32_e32 v29, v47, v11
	;; [unrolled: 1-line block ×3, first 2 shown]
	v_fmac_f32_e32 v64, v45, v14
	v_fma_f32 v65, v46, v10, -v29
	v_fmac_f32_e32 v70, v47, v10
	s_waitcnt vmcnt(3) lgkmcnt(0)
	v_mul_f32_e32 v29, v33, v21
	ds_read2_b64 v[44:47], v31 offset0:32 offset1:144
	v_fma_f32 v71, v32, v20, -v29
	v_mul_f32_e32 v72, v32, v21
	s_waitcnt vmcnt(2)
	v_mul_f32_e32 v29, v35, v17
	v_fmac_f32_e32 v72, v33, v20
	v_fma_f32 v73, v34, v16, -v29
	v_mul_f32_e32 v74, v34, v17
	ds_read2_b64 v[31:34], v25 offset0:96 offset1:208
	s_waitcnt lgkmcnt(1)
	v_mul_f32_e32 v29, v45, v23
	v_fmac_f32_e32 v74, v35, v16
	v_fma_f32 v35, v44, v22, -v29
	v_mul_f32_e32 v29, v47, v19
	v_fma_f32 v76, v46, v18, -v29
	s_waitcnt vmcnt(1) lgkmcnt(0)
	v_mul_f32_e32 v29, v32, v41
	v_mul_f32_e32 v79, v31, v41
	v_fma_f32 v78, v31, v40, -v29
	v_fmac_f32_e32 v79, v32, v40
	ds_read2_b64 v[29:32], v30 offset1:112
	v_mul_f32_e32 v75, v44, v23
	s_waitcnt vmcnt(0)
	v_mul_f32_e32 v44, v34, v37
	v_fma_f32 v80, v33, v36, -v44
	v_mul_f32_e32 v81, v33, v37
	s_waitcnt lgkmcnt(0)
	v_mul_f32_e32 v33, v30, v43
	v_fma_f32 v82, v29, v42, -v33
	v_mul_f32_e32 v83, v29, v43
	v_mul_f32_e32 v29, v32, v39
	;; [unrolled: 1-line block ×3, first 2 shown]
	v_fmac_f32_e32 v83, v30, v42
	v_fma_f32 v84, v31, v38, -v29
	v_fmac_f32_e32 v85, v32, v38
	ds_read2_b64 v[29:32], v161 offset1:112
	v_mov_b32_e32 v33, 0x120
	v_fmac_f32_e32 v75, v45, v22
	v_cndmask_b32_e32 v33, 0, v33, vcc
	v_add_f32_e32 v44, v60, v64
	v_add_f32_e32 v45, v49, v63
	v_fmac_f32_e32 v81, v34, v36
	v_add_u32_e32 v86, v48, v33
	s_waitcnt lgkmcnt(0)
	v_add_f32_e32 v33, v29, v49
	v_add_f32_e32 v34, v30, v60
	v_sub_f32_e32 v87, v60, v64
	v_fma_f32 v29, -0.5, v45, v29
	v_fma_f32 v30, -0.5, v44, v30
	v_sub_f32_e32 v60, v49, v63
	v_mul_f32_e32 v77, v46, v19
	v_mov_b32_e32 v48, v29
	v_mov_b32_e32 v49, v30
	v_lshl_add_u32 v221, v86, 3, v220
	v_fmac_f32_e32 v29, 0xbf5db3d7, v87
	v_fmac_f32_e32 v30, 0x3f5db3d7, v60
	v_fmac_f32_e32 v77, v47, v18
	ds_read2_b64 v[44:47], v27 offset0:96 offset1:208
	ds_read2_b64 v[66:69], v28 offset0:64 offset1:176
	s_waitcnt lgkmcnt(0)
	s_barrier
	ds_write_b64 v221, v[29:30] offset:1536
	v_add_f32_e32 v28, v61, v65
	v_add_f32_e32 v29, v62, v70
	;; [unrolled: 1-line block ×4, first 2 shown]
	v_fmac_f32_e32 v48, 0x3f5db3d7, v87
	v_fmac_f32_e32 v49, 0xbf5db3d7, v60
	v_add_f32_e32 v27, v31, v61
	v_fma_f32 v31, -0.5, v28, v31
	v_add_f32_e32 v28, v32, v62
	v_fmac_f32_e32 v32, -0.5, v29
	v_mul_u32_u24_e32 v29, 0x120, v50
	ds_write2_b64 v221, v[33:34], v[48:49] offset1:96
	v_sub_f32_e32 v33, v62, v70
	v_sub_f32_e32 v34, v61, v65
	v_add_u32_sdwa v48, v29, v51 dst_sel:DWORD dst_unused:UNUSED_PAD src0_sel:DWORD src1_sel:BYTE_0
	v_mov_b32_e32 v29, v31
	v_mov_b32_e32 v30, v32
	v_add_f32_e32 v27, v27, v65
	v_add_f32_e32 v28, v28, v70
	v_fmac_f32_e32 v29, 0x3f5db3d7, v33
	v_fmac_f32_e32 v30, 0xbf5db3d7, v34
	v_lshl_add_u32 v222, v48, 3, v220
	ds_write2_b64 v222, v[27:28], v[29:30] offset1:96
	v_add_f32_e32 v30, v72, v75
	v_add_f32_e32 v29, v71, v35
	v_fmac_f32_e32 v31, 0xbf5db3d7, v33
	v_fmac_f32_e32 v32, 0x3f5db3d7, v34
	v_add_f32_e32 v27, v44, v71
	v_fma_f32 v29, -0.5, v29, v44
	v_fma_f32 v30, -0.5, v30, v45
	ds_write_b64 v222, v[31:32] offset:1536
	v_add_f32_e32 v27, v27, v35
	v_add_f32_e32 v28, v45, v72
	v_sub_f32_e32 v33, v72, v75
	v_sub_f32_e32 v34, v71, v35
	v_mad_legacy_u16 v35, v54, s0, v55
	v_mov_b32_e32 v31, v29
	v_mov_b32_e32 v32, v30
	v_add_f32_e32 v28, v28, v75
	v_fmac_f32_e32 v31, 0x3f5db3d7, v33
	v_fmac_f32_e32 v32, 0xbf5db3d7, v34
	v_lshl_add_u32 v223, v35, 3, v220
	v_fmac_f32_e32 v29, 0xbf5db3d7, v33
	v_fmac_f32_e32 v30, 0x3f5db3d7, v34
	ds_write2_b64 v223, v[27:28], v[31:32] offset1:96
	ds_write_b64 v223, v[29:30] offset:1536
	v_add_f32_e32 v28, v73, v76
	v_add_f32_e32 v29, v74, v77
	;; [unrolled: 1-line block ×3, first 2 shown]
	v_fma_f32 v46, -0.5, v28, v46
	v_add_f32_e32 v28, v47, v74
	v_fmac_f32_e32 v47, -0.5, v29
	v_sub_f32_e32 v31, v74, v77
	v_sub_f32_e32 v32, v73, v76
	v_mad_legacy_u16 v33, v52, s0, v53
	v_mov_b32_e32 v29, v46
	v_mov_b32_e32 v30, v47
	v_add_f32_e32 v27, v27, v76
	v_add_f32_e32 v28, v28, v77
	v_fmac_f32_e32 v29, 0x3f5db3d7, v31
	v_fmac_f32_e32 v30, 0xbf5db3d7, v32
	v_lshl_add_u32 v224, v33, 3, v220
	ds_write2_b64 v224, v[27:28], v[29:30] offset1:96
	v_add_f32_e32 v29, v79, v83
	v_add_f32_e32 v30, v78, v82
	v_fma_f32 v149, -0.5, v30, v66
	v_fma_f32 v150, -0.5, v29, v67
	v_fmac_f32_e32 v46, 0xbf5db3d7, v31
	v_fmac_f32_e32 v47, 0x3f5db3d7, v32
	v_add_f32_e32 v27, v66, v78
	v_add_f32_e32 v28, v67, v79
	v_sub_f32_e32 v31, v79, v83
	v_sub_f32_e32 v32, v78, v82
	v_mad_legacy_u16 v33, v56, s0, v57
	v_mov_b32_e32 v29, v149
	v_mov_b32_e32 v30, v150
	v_add_f32_e32 v27, v27, v82
	v_add_f32_e32 v28, v28, v83
	v_fmac_f32_e32 v29, 0x3f5db3d7, v31
	v_fmac_f32_e32 v30, 0xbf5db3d7, v32
	v_lshl_add_u32 v225, v33, 3, v220
	ds_write_b64 v224, v[46:47] offset:1536
	ds_write2_b64 v225, v[27:28], v[29:30] offset1:96
	v_add_f32_e32 v27, v68, v80
	v_add_f32_e32 v153, v27, v84
	;; [unrolled: 1-line block ×6, first 2 shown]
	v_fmac_f32_e32 v69, -0.5, v27
	v_fma_f32 v68, -0.5, v28, v68
	v_sub_f32_e32 v27, v80, v84
	v_mov_b32_e32 v152, v69
	v_sub_f32_e32 v28, v81, v85
	v_mov_b32_e32 v151, v68
	v_fmac_f32_e32 v152, 0xbf5db3d7, v27
	v_fmac_f32_e32 v69, 0x3f5db3d7, v27
	v_mad_legacy_u16 v27, v58, s0, v59
	v_fmac_f32_e32 v149, 0xbf5db3d7, v31
	v_fmac_f32_e32 v150, 0x3f5db3d7, v32
	;; [unrolled: 1-line block ×3, first 2 shown]
	v_lshl_add_u32 v226, v27, 3, v220
	v_add_u32_e32 v27, 0x800, v161
	v_fmac_f32_e32 v68, 0xbf5db3d7, v28
	ds_write_b64 v225, v[149:150] offset:1536
	ds_write2_b64 v226, v[153:154], v[151:152] offset1:96
	ds_write_b64 v226, v[68:69] offset:1536
	s_waitcnt lgkmcnt(0)
	s_barrier
	v_add_u32_e32 v28, 0x1000, v161
	v_add_u32_e32 v29, 0x2c00, v161
	;; [unrolled: 1-line block ×3, first 2 shown]
	ds_read2_b64 v[94:97], v27 offset0:32 offset1:144
	ds_read2_b64 v[90:93], v28 offset0:64 offset1:176
	;; [unrolled: 1-line block ×6, first 2 shown]
	ds_read2_b64 v[70:73], v161 offset1:112
	v_cmp_gt_u16_e32 vcc, 64, v164
	s_and_saveexec_b64 s[0:1], vcc
	s_cbranch_execz .LBB0_3
; %bb.2:
	ds_read_b64 v[149:150], v161 offset:1792
	ds_read_b64 v[153:154], v161 offset:4096
	;; [unrolled: 1-line block ×7, first 2 shown]
.LBB0_3:
	s_or_b64 exec, exec, s[0:1]
	v_subrev_u32_e32 v25, 64, v164
	v_mad_u64_u32 v[32:33], s[0:1], v164, 48, s[14:15]
	v_cndmask_b32_e32 v24, v25, v24, vcc
	v_mul_hi_i32_i24_e32 v25, 48, v24
	v_mul_i32_i24_e32 v24, 48, v24
	v_mov_b32_e32 v26, s15
	v_add_co_u32_e64 v34, s[0:1], s14, v24
	v_addc_co_u32_e64 v35, s[0:1], v26, v25, s[0:1]
	v_add_co_u32_e64 v52, s[0:1], s6, v32
	s_movk_i32 s4, 0x1df0
	v_addc_co_u32_e64 v53, s[0:1], 0, v33, s[0:1]
	global_load_dwordx4 v[48:51], v[32:33], off offset:2288
	global_load_dwordx4 v[44:47], v[32:33], off offset:2304
	;; [unrolled: 1-line block ×3, first 2 shown]
	v_add_co_u32_e64 v32, s[0:1], s4, v32
	v_addc_co_u32_e64 v33, s[0:1], 0, v33, s[0:1]
	global_load_dwordx4 v[24:27], v[34:35], off offset:2288
	global_load_dwordx4 v[28:31], v[34:35], off offset:2304
	;; [unrolled: 1-line block ×4, first 2 shown]
	s_nop 0
	global_load_dwordx4 v[52:55], v[32:33], off offset:32
	s_nop 0
	global_load_dwordx4 v[32:35], v[34:35], off offset:2320
	s_mov_b32 s0, 0x3f5ff5aa
	s_mov_b32 s1, 0x3f3bfb3b
	;; [unrolled: 1-line block ×4, first 2 shown]
	s_waitcnt vmcnt(8) lgkmcnt(6)
	v_mul_f32_e32 v227, v95, v49
	v_mul_f32_e32 v228, v94, v49
	s_waitcnt lgkmcnt(5)
	v_mul_f32_e32 v229, v91, v51
	v_mul_f32_e32 v230, v90, v51
	s_waitcnt vmcnt(7) lgkmcnt(4)
	v_mul_f32_e32 v232, v86, v45
	s_waitcnt vmcnt(6) lgkmcnt(2)
	v_mul_f32_e32 v235, v79, v61
	v_mul_f32_e32 v236, v78, v61
	s_waitcnt lgkmcnt(1)
	v_mul_f32_e32 v237, v75, v63
	v_fma_f32 v94, v94, v48, -v227
	s_waitcnt vmcnt(2)
	v_mul_f32_e32 v227, v88, v57
	v_mul_f32_e32 v231, v87, v45
	;; [unrolled: 1-line block ×5, first 2 shown]
	v_fma_f32 v90, v90, v50, -v229
	v_fmac_f32_e32 v230, v91, v50
	v_fmac_f32_e32 v232, v87, v44
	v_fma_f32 v78, v78, v60, -v235
	v_fmac_f32_e32 v236, v79, v60
	v_fma_f32 v74, v74, v62, -v237
	v_mul_f32_e32 v79, v96, v65
	v_mul_f32_e32 v87, v92, v67
	;; [unrolled: 1-line block ×3, first 2 shown]
	v_fmac_f32_e32 v227, v89, v56
	s_waitcnt vmcnt(0) lgkmcnt(0)
	v_mul_f32_e32 v89, v156, v35
	v_mul_f32_e32 v241, v152, v27
	v_fmac_f32_e32 v228, v95, v48
	v_fma_f32 v86, v86, v44, -v231
	v_fma_f32 v82, v82, v46, -v233
	v_fmac_f32_e32 v234, v83, v46
	v_fmac_f32_e32 v238, v75, v62
	v_mul_f32_e32 v75, v97, v65
	v_mul_f32_e32 v83, v93, v67
	;; [unrolled: 1-line block ×3, first 2 shown]
	v_fmac_f32_e32 v79, v97, v64
	v_fmac_f32_e32 v87, v93, v66
	v_fma_f32 v97, v155, v34, -v89
	v_add_f32_e32 v89, v94, v74
	v_add_f32_e32 v93, v90, v78
	v_mul_f32_e32 v239, v154, v25
	v_mul_f32_e32 v242, v151, v27
	;; [unrolled: 1-line block ×5, first 2 shown]
	v_fma_f32 v241, v151, v26, -v241
	v_fma_f32 v88, v88, v56, -v91
	v_fma_f32 v84, v84, v58, -v95
	v_add_f32_e32 v91, v228, v238
	v_sub_f32_e32 v74, v94, v74
	v_add_f32_e32 v94, v230, v236
	v_sub_f32_e32 v78, v90, v78
	;; [unrolled: 2-line block ×3, first 2 shown]
	v_add_f32_e32 v151, v93, v89
	v_mul_f32_e32 v240, v153, v25
	v_mul_f32_e32 v231, v81, v53
	v_fma_f32 v239, v153, v24, -v239
	v_fmac_f32_e32 v242, v152, v26
	v_fma_f32 v243, v68, v28, -v243
	v_fma_f32 v75, v96, v64, -v75
	v_fmac_f32_e32 v229, v85, v58
	v_fmac_f32_e32 v233, v81, v52
	v_mul_f32_e32 v68, v68, v29
	v_mul_f32_e32 v81, v158, v33
	;; [unrolled: 1-line block ×4, first 2 shown]
	v_sub_f32_e32 v90, v230, v236
	v_add_f32_e32 v96, v232, v234
	v_sub_f32_e32 v86, v234, v232
	v_add_f32_e32 v152, v94, v91
	v_sub_f32_e32 v153, v93, v89
	v_sub_f32_e32 v155, v89, v95
	v_sub_f32_e32 v93, v95, v93
	v_add_f32_e32 v89, v82, v78
	v_add_f32_e32 v95, v95, v151
	v_mul_f32_e32 v237, v76, v55
	v_fmac_f32_e32 v240, v154, v24
	v_fma_f32 v83, v92, v66, -v83
	v_fmac_f32_e32 v68, v69, v28
	v_mul_f32_e32 v69, v160, v31
	v_fma_f32 v81, v157, v32, -v81
	v_fmac_f32_e32 v85, v158, v32
	v_sub_f32_e32 v92, v228, v238
	v_sub_f32_e32 v154, v94, v91
	;; [unrolled: 1-line block ×8, first 2 shown]
	v_add_f32_e32 v96, v96, v152
	v_add_f32_e32 v74, v89, v74
	;; [unrolled: 1-line block ×3, first 2 shown]
	v_mul_f32_e32 v235, v77, v55
	v_fmac_f32_e32 v237, v77, v54
	v_fma_f32 v69, v159, v30, -v69
	v_mul_f32_e32 v77, v159, v31
	v_fmac_f32_e32 v244, v156, v34
	v_add_f32_e32 v156, v86, v90
	v_sub_f32_e32 v159, v90, v92
	v_add_f32_e32 v90, v71, v96
	v_mul_f32_e32 v70, 0x3f4a47b2, v155
	v_mul_f32_e32 v155, 0xbf08b237, v158
	v_mov_b32_e32 v158, v89
	v_sub_f32_e32 v86, v92, v86
	v_mul_f32_e32 v71, 0x3f4a47b2, v91
	v_mul_f32_e32 v91, 0x3d64c772, v93
	;; [unrolled: 1-line block ×3, first 2 shown]
	v_fmac_f32_e32 v158, 0xbf955555, v95
	v_mov_b32_e32 v95, v90
	v_add_f32_e32 v92, v156, v92
	v_mul_f32_e32 v156, 0xbf08b237, v157
	v_mul_f32_e32 v152, 0x3f5ff5aa, v78
	v_fmac_f32_e32 v95, 0xbf955555, v96
	v_fma_f32 v91, v153, s1, -v91
	v_fma_f32 v96, v154, s1, -v151
	;; [unrolled: 1-line block ×3, first 2 shown]
	v_fmac_f32_e32 v70, 0x3d64c772, v93
	v_fma_f32 v153, v159, s0, -v155
	v_fmac_f32_e32 v155, 0x3eae86e6, v86
	v_fma_f32 v80, v80, v52, -v231
	v_fma_f32 v76, v76, v54, -v235
	v_mul_f32_e32 v157, 0x3f5ff5aa, v159
	v_fma_f32 v93, v154, s4, -v71
	v_fmac_f32_e32 v71, 0x3d64c772, v94
	v_fma_f32 v78, v78, s0, -v156
	v_fmac_f32_e32 v156, 0x3eae86e6, v82
	v_fma_f32 v82, v82, s5, -v152
	v_add_f32_e32 v70, v70, v158
	v_fmac_f32_e32 v155, 0x3ee1c552, v92
	v_fma_f32 v86, v86, s5, -v157
	v_add_f32_e32 v71, v71, v95
	v_add_f32_e32 v152, v91, v158
	;; [unrolled: 1-line block ×5, first 2 shown]
	v_fmac_f32_e32 v156, 0x3ee1c552, v74
	v_fmac_f32_e32 v78, 0x3ee1c552, v74
	;; [unrolled: 1-line block ×4, first 2 shown]
	v_add_f32_e32 v91, v155, v70
	v_sub_f32_e32 v155, v70, v155
	v_add_f32_e32 v70, v75, v76
	v_sub_f32_e32 v74, v75, v76
	v_add_f32_e32 v76, v83, v80
	v_fmac_f32_e32 v86, 0x3ee1c552, v92
	v_sub_f32_e32 v92, v71, v156
	v_sub_f32_e32 v94, v158, v82
	;; [unrolled: 1-line block ×3, first 2 shown]
	v_add_f32_e32 v96, v78, v154
	v_add_f32_e32 v151, v153, v152
	v_sub_f32_e32 v152, v154, v78
	v_add_f32_e32 v154, v82, v158
	v_add_f32_e32 v156, v156, v71
	;; [unrolled: 1-line block ×3, first 2 shown]
	v_sub_f32_e32 v75, v79, v237
	v_add_f32_e32 v78, v87, v233
	v_sub_f32_e32 v79, v83, v80
	v_sub_f32_e32 v80, v87, v233
	v_add_f32_e32 v82, v88, v84
	v_sub_f32_e32 v84, v84, v88
	v_add_f32_e32 v87, v76, v70
	v_add_f32_e32 v93, v86, v157
	v_sub_f32_e32 v153, v157, v86
	v_add_f32_e32 v83, v227, v229
	v_sub_f32_e32 v86, v229, v227
	;; [unrolled: 2-line block ×3, first 2 shown]
	v_sub_f32_e32 v70, v70, v82
	v_sub_f32_e32 v76, v82, v76
	v_add_f32_e32 v157, v84, v79
	v_add_f32_e32 v82, v82, v87
	v_fmac_f32_e32 v77, v160, v30
	v_sub_f32_e32 v160, v78, v71
	v_sub_f32_e32 v71, v71, v83
	;; [unrolled: 1-line block ×3, first 2 shown]
	v_add_f32_e32 v158, v86, v80
	v_sub_f32_e32 v227, v84, v79
	v_sub_f32_e32 v84, v74, v84
	;; [unrolled: 1-line block ×3, first 2 shown]
	v_add_f32_e32 v83, v83, v88
	v_add_f32_e32 v74, v157, v74
	;; [unrolled: 1-line block ×3, first 2 shown]
	v_sub_f32_e32 v228, v86, v80
	v_sub_f32_e32 v86, v75, v86
	;; [unrolled: 1-line block ×3, first 2 shown]
	v_add_f32_e32 v75, v158, v75
	v_add_f32_e32 v158, v73, v83
	v_mov_b32_e32 v229, v157
	v_mul_f32_e32 v70, 0x3f4a47b2, v70
	v_mul_f32_e32 v71, 0x3f4a47b2, v71
	;; [unrolled: 1-line block ×4, first 2 shown]
	v_fmac_f32_e32 v229, 0xbf955555, v82
	v_mov_b32_e32 v82, v158
	v_mul_f32_e32 v72, 0x3d64c772, v76
	v_mul_f32_e32 v73, 0x3d64c772, v78
	;; [unrolled: 1-line block ×3, first 2 shown]
	v_fmac_f32_e32 v82, 0xbf955555, v83
	v_fma_f32 v83, v159, s4, -v70
	v_fmac_f32_e32 v70, 0x3d64c772, v76
	v_fma_f32 v76, v160, s4, -v71
	;; [unrolled: 2-line block ×3, first 2 shown]
	v_fma_f32 v79, v80, s0, -v88
	v_fmac_f32_e32 v88, 0x3eae86e6, v86
	v_mul_f32_e32 v228, 0x3f5ff5aa, v80
	v_fma_f32 v72, v159, s1, -v72
	v_fmac_f32_e32 v87, 0x3eae86e6, v84
	v_fma_f32 v80, v84, s5, -v227
	v_add_f32_e32 v70, v70, v229
	v_fmac_f32_e32 v88, 0x3ee1c552, v75
	v_fma_f32 v73, v160, s1, -v73
	v_fma_f32 v84, v86, s5, -v228
	v_add_f32_e32 v71, v71, v82
	v_add_f32_e32 v72, v72, v229
	;; [unrolled: 1-line block ×3, first 2 shown]
	v_fmac_f32_e32 v87, 0x3ee1c552, v74
	v_fmac_f32_e32 v78, 0x3ee1c552, v74
	;; [unrolled: 1-line block ×4, first 2 shown]
	v_add_f32_e32 v159, v88, v70
	v_sub_f32_e32 v235, v70, v88
	v_add_f32_e32 v70, v239, v97
	v_add_f32_e32 v74, v241, v81
	;; [unrolled: 1-line block ×4, first 2 shown]
	v_fmac_f32_e32 v84, 0x3ee1c552, v75
	v_sub_f32_e32 v160, v71, v87
	v_sub_f32_e32 v228, v76, v80
	;; [unrolled: 1-line block ×3, first 2 shown]
	v_add_f32_e32 v231, v79, v72
	v_add_f32_e32 v234, v80, v76
	;; [unrolled: 1-line block ×7, first 2 shown]
	v_sub_f32_e32 v68, v77, v68
	v_add_f32_e32 v77, v74, v70
	v_add_f32_e32 v230, v78, v73
	v_sub_f32_e32 v232, v73, v78
	v_sub_f32_e32 v73, v240, v244
	;; [unrolled: 1-line block ×4, first 2 shown]
	v_add_f32_e32 v81, v75, v71
	v_add_f32_e32 v77, v79, v77
	v_sub_f32_e32 v72, v239, v97
	v_sub_f32_e32 v69, v69, v243
	v_add_f32_e32 v85, v68, v78
	v_sub_f32_e32 v87, v68, v78
	v_sub_f32_e32 v97, v73, v68
	;; [unrolled: 1-line block ×3, first 2 shown]
	v_add_f32_e32 v78, v80, v81
	v_add_f32_e32 v68, v149, v77
	;; [unrolled: 1-line block ×3, first 2 shown]
	v_sub_f32_e32 v233, v83, v84
	v_sub_f32_e32 v82, v74, v70
	;; [unrolled: 1-line block ×7, first 2 shown]
	v_add_f32_e32 v84, v69, v76
	v_sub_f32_e32 v86, v69, v76
	v_sub_f32_e32 v88, v72, v69
	;; [unrolled: 1-line block ×3, first 2 shown]
	v_add_f32_e32 v69, v150, v78
	v_mov_b32_e32 v149, v68
	v_add_f32_e32 v72, v84, v72
	v_add_f32_e32 v73, v85, v73
	v_mul_f32_e32 v80, 0x3f4a47b2, v70
	v_mul_f32_e32 v84, 0x3f4a47b2, v71
	;; [unrolled: 1-line block ×8, first 2 shown]
	v_fmac_f32_e32 v149, 0xbf955555, v77
	v_mov_b32_e32 v77, v69
	v_fmac_f32_e32 v77, 0xbf955555, v78
	v_fma_f32 v87, v82, s1, -v79
	v_fma_f32 v150, v83, s1, -v81
	;; [unrolled: 1-line block ×3, first 2 shown]
	v_fmac_f32_e32 v80, 0x3d64c772, v74
	v_fma_f32 v74, v83, s4, -v84
	v_fmac_f32_e32 v84, 0x3d64c772, v75
	v_fma_f32 v78, v76, s0, -v70
	;; [unrolled: 2-line block ×4, first 2 shown]
	v_fma_f32 v83, v97, s5, -v86
	v_add_f32_e32 v81, v80, v149
	v_add_f32_e32 v84, v84, v77
	;; [unrolled: 1-line block ×6, first 2 shown]
	v_fmac_f32_e32 v70, 0x3ee1c552, v72
	v_fmac_f32_e32 v71, 0x3ee1c552, v73
	;; [unrolled: 1-line block ×6, first 2 shown]
	v_add_f32_e32 v74, v79, v85
	v_sub_f32_e32 v75, v87, v78
	v_sub_f32_e32 v72, v86, v83
	v_add_f32_e32 v73, v82, v88
	v_sub_f32_e32 v76, v81, v71
	v_add_f32_e32 v77, v70, v84
	v_lshl_add_u32 v80, v164, 3, v220
	ds_write_b64 v80, v[91:92] offset:2304
	ds_write_b64 v80, v[93:94] offset:4608
	;; [unrolled: 1-line block ×6, first 2 shown]
	ds_write2_b64 v161, v[89:90], v[157:158] offset1:112
	ds_write_b64 v80, v[159:160] offset:3200
	ds_write_b64 v80, v[227:228] offset:5504
	;; [unrolled: 1-line block ×6, first 2 shown]
	s_and_saveexec_b64 s[0:1], vcc
	s_cbranch_execz .LBB0_5
; %bb.4:
	v_add_f32_e32 v90, v78, v87
	v_sub_f32_e32 v89, v85, v79
	v_sub_f32_e32 v79, v88, v82
	v_add_f32_e32 v78, v83, v86
	v_sub_f32_e32 v82, v84, v70
	v_add_f32_e32 v81, v71, v81
	ds_write_b64 v161, v[68:69] offset:1792
	ds_write_b64 v80, v[81:82] offset:4096
	;; [unrolled: 1-line block ×7, first 2 shown]
.LBB0_5:
	s_or_b64 exec, exec, s[0:1]
	s_add_u32 s4, s12, 0x3f00
	s_addc_u32 s5, s13, 0
	v_lshlrev_b32_e32 v97, 3, v164
	v_add_co_u32_e64 v153, s[0:1], s4, v97
	v_mov_b32_e32 v68, s5
	s_waitcnt lgkmcnt(0)
	s_barrier
	v_addc_co_u32_e64 v154, s[0:1], 0, v68, s[0:1]
	global_load_dwordx2 v[68:69], v97, s[4:5]
	s_movk_i32 s0, 0x1000
	v_add_co_u32_e64 v93, s[0:1], s0, v153
	v_addc_co_u32_e64 v94, s[0:1], 0, v154, s[0:1]
	global_load_dwordx2 v[87:88], v[93:94], off offset:3968
	ds_read2_b64 v[81:84], v161 offset1:112
	s_movk_i32 s0, 0x2000
	v_add_co_u32_e64 v91, s[0:1], s0, v153
	v_addc_co_u32_e64 v92, s[0:1], 0, v154, s[0:1]
	s_movk_i32 s0, 0x3000
	s_waitcnt vmcnt(1) lgkmcnt(0)
	v_mul_f32_e32 v70, v82, v69
	v_fma_f32 v85, v81, v68, -v70
	v_mul_f32_e32 v86, v81, v69
	v_add_u32_e32 v81, 0x1800, v161
	v_fmac_f32_e32 v86, v82, v68
	ds_read2_b64 v[68:71], v81 offset0:128 offset1:240
	s_waitcnt vmcnt(0) lgkmcnt(0)
	v_mul_f32_e32 v78, v71, v88
	v_mul_f32_e32 v79, v70, v88
	v_fma_f32 v78, v70, v87, -v78
	v_fmac_f32_e32 v79, v71, v87
	global_load_dwordx2 v[70:71], v97, s[4:5] offset:896
	s_waitcnt vmcnt(0)
	v_mul_f32_e32 v82, v84, v71
	v_fma_f32 v82, v83, v70, -v82
	v_mul_f32_e32 v83, v83, v71
	v_fmac_f32_e32 v83, v84, v70
	global_load_dwordx2 v[70:71], v[91:92], off offset:768
	ds_write2_b64 v161, v[85:86], v[82:83] offset1:112
	v_add_u32_e32 v82, 0x2000, v161
	ds_read2_b64 v[83:86], v82 offset0:96 offset1:208
	s_waitcnt vmcnt(0) lgkmcnt(0)
	v_mul_f32_e32 v87, v84, v71
	v_mul_f32_e32 v96, v83, v71
	v_fma_f32 v95, v83, v70, -v87
	v_fmac_f32_e32 v96, v84, v70
	global_load_dwordx2 v[83:84], v97, s[4:5] offset:1792
	v_add_u32_e32 v70, 0x400, v161
	ds_read2_b64 v[87:90], v70 offset0:96 offset1:208
	s_waitcnt vmcnt(0) lgkmcnt(0)
	v_mul_f32_e32 v71, v88, v84
	v_mul_f32_e32 v150, v87, v84
	v_fma_f32 v149, v87, v83, -v71
	v_fmac_f32_e32 v150, v88, v83
	global_load_dwordx2 v[83:84], v[91:92], off offset:1664
	s_waitcnt vmcnt(0)
	v_mul_f32_e32 v71, v86, v84
	v_mul_f32_e32 v88, v85, v84
	v_fma_f32 v87, v85, v83, -v71
	v_fmac_f32_e32 v88, v86, v83
	global_load_dwordx2 v[83:84], v97, s[4:5] offset:2688
	ds_write2_b64 v82, v[95:96], v[87:88] offset0:96 offset1:208
	global_load_dwordx2 v[87:88], v[91:92], off offset:2560
	s_waitcnt vmcnt(1)
	v_mul_f32_e32 v71, v90, v84
	v_mul_f32_e32 v86, v89, v84
	v_fma_f32 v85, v89, v83, -v71
	v_fmac_f32_e32 v86, v90, v83
	ds_write2_b64 v70, v[149:150], v[85:86] offset0:96 offset1:208
	global_load_dwordx2 v[149:150], v97, s[4:5] offset:3584
	v_add_u32_e32 v71, 0x2800, v161
	ds_read2_b64 v[83:86], v71 offset0:64 offset1:176
	s_waitcnt vmcnt(1) lgkmcnt(0)
	v_mul_f32_e32 v89, v84, v88
	v_fma_f32 v95, v83, v87, -v89
	v_mul_f32_e32 v96, v83, v88
	v_add_u32_e32 v83, 0xc00, v161
	v_fmac_f32_e32 v96, v84, v87
	ds_read2_b64 v[87:90], v83 offset0:64 offset1:176
	s_waitcnt vmcnt(0) lgkmcnt(0)
	v_mul_f32_e32 v84, v88, v150
	v_mul_f32_e32 v152, v87, v150
	v_fma_f32 v151, v87, v149, -v84
	v_fmac_f32_e32 v152, v88, v149
	global_load_dwordx2 v[87:88], v[91:92], off offset:3456
	s_waitcnt vmcnt(0)
	v_mul_f32_e32 v84, v86, v88
	v_fma_f32 v84, v85, v87, -v84
	v_mul_f32_e32 v85, v85, v88
	v_fmac_f32_e32 v85, v86, v87
	ds_write2_b64 v71, v[95:96], v[84:85] offset0:64 offset1:176
	global_load_dwordx2 v[84:85], v[93:94], off offset:384
	v_add_co_u32_e64 v95, s[0:1], s0, v153
	v_addc_co_u32_e64 v96, s[0:1], 0, v154, s[0:1]
	s_waitcnt vmcnt(0)
	v_mul_f32_e32 v86, v90, v85
	v_mul_f32_e32 v87, v89, v85
	v_fma_f32 v86, v89, v84, -v86
	v_fmac_f32_e32 v87, v90, v84
	global_load_dwordx2 v[89:90], v[95:96], off offset:256
	ds_write2_b64 v83, v[151:152], v[86:87] offset0:64 offset1:176
	global_load_dwordx2 v[151:152], v[93:94], off offset:1280
	v_add_u32_e32 v84, 0x3000, v161
	ds_read2_b64 v[85:88], v84 offset0:32 offset1:144
	s_waitcnt vmcnt(1) lgkmcnt(0)
	v_mul_f32_e32 v91, v86, v90
	v_fma_f32 v149, v85, v89, -v91
	v_mul_f32_e32 v150, v85, v90
	v_add_u32_e32 v85, 0x1400, v161
	v_fmac_f32_e32 v150, v86, v89
	ds_read2_b64 v[89:92], v85 offset0:32 offset1:144
	s_waitcnt vmcnt(0) lgkmcnt(0)
	v_mul_f32_e32 v86, v90, v152
	v_mul_f32_e32 v154, v89, v152
	v_fma_f32 v153, v89, v151, -v86
	v_fmac_f32_e32 v154, v90, v151
	global_load_dwordx2 v[89:90], v[95:96], off offset:1152
	s_waitcnt vmcnt(0)
	v_mul_f32_e32 v86, v88, v90
	v_fma_f32 v86, v87, v89, -v86
	v_mul_f32_e32 v87, v87, v90
	v_fmac_f32_e32 v87, v88, v89
	ds_write2_b64 v84, v[149:150], v[86:87] offset0:32 offset1:144
	global_load_dwordx2 v[86:87], v[93:94], off offset:2176
	s_waitcnt vmcnt(0)
	v_mul_f32_e32 v88, v92, v87
	v_mul_f32_e32 v89, v91, v87
	v_fma_f32 v88, v91, v86, -v88
	v_fmac_f32_e32 v89, v92, v86
	global_load_dwordx2 v[91:92], v200, s[4:5]
	v_add_u32_e32 v86, 0x3800, v161
	ds_write2_b64 v85, v[153:154], v[88:89] offset0:32 offset1:144
	ds_read2_b64 v[87:90], v86 offset1:112
	s_waitcnt vmcnt(0) lgkmcnt(0)
	v_mul_f32_e32 v93, v88, v92
	v_mul_f32_e32 v94, v87, v92
	v_fma_f32 v93, v87, v91, -v93
	v_fmac_f32_e32 v94, v88, v91
	global_load_dwordx2 v[87:88], v192, s[4:5]
	s_waitcnt vmcnt(0)
	v_mul_f32_e32 v91, v69, v88
	v_mul_f32_e32 v92, v68, v88
	v_fma_f32 v91, v68, v87, -v91
	v_fmac_f32_e32 v92, v69, v87
	global_load_dwordx2 v[68:69], v[95:96], off offset:2944
	ds_write2_b64 v81, v[91:92], v[78:79] offset0:128 offset1:240
	s_waitcnt vmcnt(0)
	v_mul_f32_e32 v78, v90, v69
	v_mul_f32_e32 v79, v89, v69
	v_fma_f32 v78, v89, v68, -v78
	v_fmac_f32_e32 v79, v90, v68
	ds_write2_b64 v86, v[93:94], v[78:79] offset1:112
	s_waitcnt lgkmcnt(0)
	s_barrier
	ds_read2_b64 v[87:90], v161 offset1:112
	ds_read2_b64 v[91:94], v81 offset0:128 offset1:240
	ds_read2_b64 v[149:152], v82 offset0:96 offset1:208
	;; [unrolled: 1-line block ×7, first 2 shown]
	ds_read2_b64 v[239:242], v86 offset1:112
	s_waitcnt lgkmcnt(6)
	v_sub_f32_e32 v245, v89, v149
	v_sub_f32_e32 v246, v90, v150
	v_fma_f32 v243, v89, 2.0, -v245
	v_fma_f32 v244, v90, 2.0, -v246
	s_waitcnt lgkmcnt(5)
	v_sub_f32_e32 v89, v153, v151
	v_sub_f32_e32 v90, v154, v152
	s_waitcnt lgkmcnt(4)
	v_sub_f32_e32 v151, v155, v157
	v_sub_f32_e32 v152, v156, v158
	v_fma_f32 v149, v155, 2.0, -v151
	v_fma_f32 v150, v156, 2.0, -v152
	s_waitcnt lgkmcnt(3)
	v_sub_f32_e32 v155, v227, v159
	v_sub_f32_e32 v156, v228, v160
	s_waitcnt lgkmcnt(2)
	v_sub_f32_e32 v159, v229, v231
	v_sub_f32_e32 v160, v230, v232
	;; [unrolled: 1-line block ×4, first 2 shown]
	v_fma_f32 v157, v229, 2.0, -v159
	v_fma_f32 v158, v230, 2.0, -v160
	s_waitcnt lgkmcnt(1)
	v_sub_f32_e32 v229, v235, v233
	v_sub_f32_e32 v230, v236, v234
	s_waitcnt lgkmcnt(0)
	v_sub_f32_e32 v233, v237, v239
	v_sub_f32_e32 v234, v238, v240
	v_fma_f32 v93, v87, 2.0, -v95
	v_fma_f32 v94, v88, 2.0, -v96
	;; [unrolled: 1-line block ×10, first 2 shown]
	v_sub_f32_e32 v237, v91, v241
	v_sub_f32_e32 v238, v92, v242
	v_fma_f32 v235, v91, 2.0, -v237
	v_fma_f32 v236, v92, 2.0, -v238
	s_barrier
	ds_write_b128 v165, v[93:96]
	ds_write_b128 v166, v[243:246]
	;; [unrolled: 1-line block ×9, first 2 shown]
	s_waitcnt lgkmcnt(0)
	s_barrier
	ds_read2_b64 v[87:90], v161 offset1:112
	ds_read2_b64 v[91:94], v81 offset0:128 offset1:240
	ds_read2_b64 v[149:152], v82 offset0:96 offset1:208
	;; [unrolled: 1-line block ×7, first 2 shown]
	ds_read2_b64 v[231:234], v86 offset1:112
	s_waitcnt lgkmcnt(7)
	v_mul_f32_e32 v69, v136, v93
	s_waitcnt lgkmcnt(6)
	v_mul_f32_e32 v78, v136, v149
	v_mul_f32_e32 v68, v136, v94
	v_fma_f32 v69, v135, v94, -v69
	v_fma_f32 v94, v135, v150, -v78
	v_mul_f32_e32 v78, v136, v151
	v_fmac_f32_e32 v68, v135, v93
	v_mul_f32_e32 v93, v136, v150
	v_fma_f32 v96, v135, v152, -v78
	s_waitcnt lgkmcnt(4)
	v_mul_f32_e32 v78, v136, v157
	v_fmac_f32_e32 v93, v135, v149
	v_fma_f32 v149, v135, v158, -v78
	v_mul_f32_e32 v78, v136, v159
	v_mul_f32_e32 v95, v136, v152
	v_fma_f32 v152, v135, v160, -v78
	s_waitcnt lgkmcnt(2)
	v_mul_f32_e32 v78, v136, v169
	v_fmac_f32_e32 v95, v135, v151
	v_mul_f32_e32 v97, v136, v158
	v_mul_f32_e32 v151, v136, v160
	v_fma_f32 v158, v135, v170, -v78
	v_mul_f32_e32 v78, v136, v171
	v_fmac_f32_e32 v97, v135, v157
	v_fmac_f32_e32 v151, v135, v159
	v_mul_f32_e32 v157, v136, v170
	v_mul_f32_e32 v159, v136, v172
	v_fma_f32 v160, v135, v172, -v78
	s_waitcnt lgkmcnt(0)
	v_mul_f32_e32 v78, v136, v231
	v_fmac_f32_e32 v157, v135, v169
	v_fmac_f32_e32 v159, v135, v171
	v_mul_f32_e32 v169, v136, v232
	v_fma_f32 v170, v135, v232, -v78
	v_mul_f32_e32 v171, v136, v234
	v_mul_f32_e32 v78, v136, v233
	v_fmac_f32_e32 v169, v135, v231
	v_fmac_f32_e32 v171, v135, v233
	v_fma_f32 v172, v135, v234, -v78
	v_sub_f32_e32 v135, v155, v97
	v_sub_f32_e32 v136, v156, v149
	;; [unrolled: 1-line block ×4, first 2 shown]
	v_fma_f32 v149, v155, 2.0, -v135
	v_fma_f32 v150, v156, 2.0, -v136
	v_sub_f32_e32 v155, v167, v157
	v_sub_f32_e32 v156, v168, v158
	v_fma_f32 v78, v87, 2.0, -v68
	v_fma_f32 v79, v88, 2.0, -v69
	v_sub_f32_e32 v87, v89, v93
	v_sub_f32_e32 v88, v90, v94
	;; [unrolled: 1-line block ×6, first 2 shown]
	v_fma_f32 v157, v167, 2.0, -v155
	v_fma_f32 v158, v168, 2.0, -v156
	v_sub_f32_e32 v159, v227, v159
	v_sub_f32_e32 v160, v228, v160
	;; [unrolled: 1-line block ×6, first 2 shown]
	v_fma_f32 v89, v89, 2.0, -v87
	v_fma_f32 v90, v90, 2.0, -v88
	;; [unrolled: 1-line block ×12, first 2 shown]
	s_barrier
	ds_write2_b64 v174, v[78:79], v[68:69] offset1:2
	ds_write2_b64 v175, v[89:90], v[87:88] offset1:2
	;; [unrolled: 1-line block ×9, first 2 shown]
	s_waitcnt lgkmcnt(0)
	s_barrier
	ds_read2_b64 v[87:90], v161 offset1:112
	ds_read2_b64 v[91:94], v81 offset0:128 offset1:240
	ds_read2_b64 v[149:152], v82 offset0:96 offset1:208
	ds_read2_b64 v[153:156], v70 offset0:96 offset1:208
	ds_read2_b64 v[157:160], v71 offset0:64 offset1:176
	ds_read2_b64 v[165:168], v83 offset0:64 offset1:176
	ds_read2_b64 v[169:172], v84 offset0:32 offset1:144
	ds_read2_b64 v[173:176], v85 offset0:32 offset1:144
	ds_read2_b64 v[177:180], v86 offset1:112
	s_waitcnt lgkmcnt(7)
	v_mul_f32_e32 v69, v138, v93
	s_waitcnt lgkmcnt(6)
	v_mul_f32_e32 v78, v138, v149
	v_mul_f32_e32 v68, v138, v94
	v_fma_f32 v69, v137, v94, -v69
	v_fma_f32 v94, v137, v150, -v78
	v_mul_f32_e32 v78, v138, v151
	v_fma_f32 v96, v137, v152, -v78
	s_waitcnt lgkmcnt(4)
	v_mul_f32_e32 v78, v138, v157
	v_fma_f32 v136, v137, v158, -v78
	v_mul_f32_e32 v78, v138, v159
	v_fmac_f32_e32 v68, v137, v93
	v_mul_f32_e32 v93, v138, v150
	v_fma_f32 v150, v137, v160, -v78
	s_waitcnt lgkmcnt(2)
	v_mul_f32_e32 v78, v138, v169
	v_fmac_f32_e32 v93, v137, v149
	v_mul_f32_e32 v97, v138, v158
	v_mul_f32_e32 v149, v138, v160
	v_fma_f32 v158, v137, v170, -v78
	v_mul_f32_e32 v78, v138, v171
	v_mul_f32_e32 v95, v138, v152
	v_fmac_f32_e32 v97, v137, v157
	v_fmac_f32_e32 v149, v137, v159
	v_mul_f32_e32 v157, v138, v170
	v_mul_f32_e32 v159, v138, v172
	v_fma_f32 v160, v137, v172, -v78
	s_waitcnt lgkmcnt(0)
	v_mul_f32_e32 v78, v138, v177
	v_fmac_f32_e32 v95, v137, v151
	v_fmac_f32_e32 v157, v137, v169
	;; [unrolled: 1-line block ×3, first 2 shown]
	v_mul_f32_e32 v169, v138, v178
	v_fma_f32 v170, v137, v178, -v78
	v_mul_f32_e32 v171, v138, v180
	v_mul_f32_e32 v78, v138, v179
	v_sub_f32_e32 v68, v87, v68
	v_sub_f32_e32 v69, v88, v69
	v_fmac_f32_e32 v169, v137, v177
	v_fmac_f32_e32 v171, v137, v179
	v_fma_f32 v172, v137, v180, -v78
	v_fma_f32 v78, v87, 2.0, -v68
	v_fma_f32 v79, v88, 2.0, -v69
	v_sub_f32_e32 v87, v89, v93
	v_sub_f32_e32 v88, v90, v94
	;; [unrolled: 1-line block ×6, first 2 shown]
	v_fma_f32 v95, v153, 2.0, -v93
	v_fma_f32 v96, v154, 2.0, -v94
	v_sub_f32_e32 v135, v155, v97
	v_sub_f32_e32 v136, v156, v136
	v_fma_f32 v151, v165, 2.0, -v149
	v_fma_f32 v152, v166, 2.0, -v150
	v_sub_f32_e32 v153, v167, v157
	v_sub_f32_e32 v154, v168, v158
	;; [unrolled: 1-line block ×8, first 2 shown]
	v_fma_f32 v89, v89, 2.0, -v87
	v_fma_f32 v90, v90, 2.0, -v88
	;; [unrolled: 1-line block ×12, first 2 shown]
	s_barrier
	ds_write2_b64 v183, v[78:79], v[68:69] offset1:4
	ds_write2_b64 v184, v[89:90], v[87:88] offset1:4
	;; [unrolled: 1-line block ×9, first 2 shown]
	s_waitcnt lgkmcnt(0)
	s_barrier
	ds_read2_b64 v[87:90], v161 offset1:112
	ds_read2_b64 v[91:94], v81 offset0:128 offset1:240
	ds_read2_b64 v[135:138], v82 offset0:96 offset1:208
	;; [unrolled: 1-line block ×7, first 2 shown]
	ds_read2_b64 v[173:176], v86 offset1:112
	s_waitcnt lgkmcnt(7)
	v_mul_f32_e32 v69, v140, v93
	s_waitcnt lgkmcnt(6)
	v_mul_f32_e32 v78, v140, v135
	v_mul_f32_e32 v68, v140, v94
	v_fma_f32 v69, v139, v94, -v69
	v_fma_f32 v94, v139, v136, -v78
	v_mul_f32_e32 v78, v140, v137
	v_fma_f32 v96, v139, v138, -v78
	s_waitcnt lgkmcnt(4)
	v_mul_f32_e32 v97, v140, v154
	v_mul_f32_e32 v78, v140, v153
	v_fmac_f32_e32 v68, v139, v93
	v_mul_f32_e32 v93, v140, v136
	v_fmac_f32_e32 v97, v139, v153
	v_fma_f32 v136, v139, v154, -v78
	v_mul_f32_e32 v153, v140, v156
	v_mul_f32_e32 v78, v140, v155
	v_fmac_f32_e32 v153, v139, v155
	v_fma_f32 v154, v139, v156, -v78
	s_waitcnt lgkmcnt(2)
	v_mul_f32_e32 v155, v140, v166
	v_mul_f32_e32 v78, v140, v165
	v_fmac_f32_e32 v155, v139, v165
	v_fma_f32 v156, v139, v166, -v78
	v_mul_f32_e32 v165, v140, v168
	v_mul_f32_e32 v78, v140, v167
	v_fmac_f32_e32 v165, v139, v167
	v_fma_f32 v166, v139, v168, -v78
	s_waitcnt lgkmcnt(0)
	v_mul_f32_e32 v167, v140, v174
	v_mul_f32_e32 v78, v140, v173
	v_fmac_f32_e32 v93, v139, v135
	v_mul_f32_e32 v95, v140, v138
	v_fmac_f32_e32 v167, v139, v173
	v_fma_f32 v168, v139, v174, -v78
	v_mul_f32_e32 v173, v140, v176
	v_mul_f32_e32 v78, v140, v175
	v_sub_f32_e32 v135, v151, v97
	v_sub_f32_e32 v136, v152, v136
	v_fmac_f32_e32 v95, v139, v137
	v_fmac_f32_e32 v173, v139, v175
	v_fma_f32 v174, v139, v176, -v78
	v_sub_f32_e32 v68, v87, v68
	v_sub_f32_e32 v69, v88, v69
	v_fma_f32 v137, v151, 2.0, -v135
	v_fma_f32 v138, v152, 2.0, -v136
	v_sub_f32_e32 v151, v159, v155
	v_sub_f32_e32 v152, v160, v156
	v_fma_f32 v78, v87, 2.0, -v68
	v_fma_f32 v79, v88, 2.0, -v69
	v_sub_f32_e32 v87, v89, v93
	v_sub_f32_e32 v88, v90, v94
	;; [unrolled: 1-line block ×6, first 2 shown]
	v_fma_f32 v153, v159, 2.0, -v151
	v_fma_f32 v154, v160, 2.0, -v152
	v_sub_f32_e32 v155, v169, v165
	v_sub_f32_e32 v156, v170, v166
	;; [unrolled: 1-line block ×6, first 2 shown]
	v_fma_f32 v89, v89, 2.0, -v87
	v_fma_f32 v90, v90, 2.0, -v88
	;; [unrolled: 1-line block ×12, first 2 shown]
	s_barrier
	ds_write2_b64 v193, v[78:79], v[68:69] offset1:8
	ds_write2_b64 v194, v[89:90], v[87:88] offset1:8
	;; [unrolled: 1-line block ×9, first 2 shown]
	s_waitcnt lgkmcnt(0)
	s_barrier
	ds_read2_b64 v[87:90], v161 offset1:112
	ds_read2_b64 v[91:94], v81 offset0:128 offset1:240
	ds_read2_b64 v[135:138], v82 offset0:96 offset1:208
	;; [unrolled: 1-line block ×7, first 2 shown]
	ds_read2_b64 v[173:176], v86 offset1:112
	s_waitcnt lgkmcnt(7)
	v_mul_f32_e32 v69, v142, v93
	s_waitcnt lgkmcnt(6)
	v_mul_f32_e32 v78, v142, v135
	v_mul_f32_e32 v68, v142, v94
	v_fma_f32 v69, v141, v94, -v69
	v_fma_f32 v94, v141, v136, -v78
	v_mul_f32_e32 v78, v142, v137
	v_fma_f32 v96, v141, v138, -v78
	s_waitcnt lgkmcnt(4)
	v_mul_f32_e32 v78, v142, v153
	v_fmac_f32_e32 v68, v141, v93
	v_mul_f32_e32 v93, v142, v136
	v_fma_f32 v136, v141, v154, -v78
	v_mul_f32_e32 v78, v142, v155
	v_fma_f32 v140, v141, v156, -v78
	s_waitcnt lgkmcnt(2)
	v_mul_f32_e32 v78, v142, v165
	v_mul_f32_e32 v97, v142, v154
	;; [unrolled: 1-line block ×3, first 2 shown]
	v_fma_f32 v154, v141, v166, -v78
	v_mul_f32_e32 v78, v142, v167
	v_mul_f32_e32 v95, v142, v138
	v_fmac_f32_e32 v97, v141, v153
	v_fmac_f32_e32 v139, v141, v155
	v_mul_f32_e32 v153, v142, v166
	v_mul_f32_e32 v155, v142, v168
	v_fma_f32 v156, v141, v168, -v78
	s_waitcnt lgkmcnt(0)
	v_mul_f32_e32 v78, v142, v173
	v_fmac_f32_e32 v93, v141, v135
	v_fmac_f32_e32 v95, v141, v137
	;; [unrolled: 1-line block ×4, first 2 shown]
	v_mul_f32_e32 v165, v142, v174
	v_fma_f32 v166, v141, v174, -v78
	v_mul_f32_e32 v167, v142, v176
	v_mul_f32_e32 v78, v142, v175
	v_sub_f32_e32 v68, v87, v68
	v_sub_f32_e32 v69, v88, v69
	v_fmac_f32_e32 v165, v141, v173
	v_fmac_f32_e32 v167, v141, v175
	v_fma_f32 v168, v141, v176, -v78
	v_fma_f32 v78, v87, 2.0, -v68
	v_fma_f32 v79, v88, 2.0, -v69
	v_sub_f32_e32 v87, v89, v93
	v_sub_f32_e32 v88, v90, v94
	;; [unrolled: 1-line block ×6, first 2 shown]
	v_fma_f32 v95, v149, 2.0, -v93
	v_fma_f32 v96, v150, 2.0, -v94
	v_sub_f32_e32 v135, v151, v97
	v_sub_f32_e32 v136, v152, v136
	v_fma_f32 v141, v157, 2.0, -v139
	v_fma_f32 v142, v158, 2.0, -v140
	v_sub_f32_e32 v149, v159, v153
	v_sub_f32_e32 v150, v160, v154
	;; [unrolled: 1-line block ×8, first 2 shown]
	v_fma_f32 v89, v89, 2.0, -v87
	v_fma_f32 v90, v90, 2.0, -v88
	;; [unrolled: 1-line block ×12, first 2 shown]
	s_barrier
	ds_write2_b64 v203, v[78:79], v[68:69] offset1:16
	ds_write2_b64 v204, v[89:90], v[87:88] offset1:16
	;; [unrolled: 1-line block ×9, first 2 shown]
	s_waitcnt lgkmcnt(0)
	s_barrier
	ds_read2_b64 v[87:90], v161 offset1:112
	ds_read2_b64 v[91:94], v85 offset0:32 offset1:144
	ds_read2_b64 v[135:138], v71 offset0:64 offset1:176
	;; [unrolled: 1-line block ×7, first 2 shown]
	ds_read2_b64 v[169:172], v86 offset1:112
	s_waitcnt lgkmcnt(7)
	v_mul_f32_e32 v68, v1, v92
	v_mul_f32_e32 v69, v1, v91
	v_fmac_f32_e32 v68, v0, v91
	v_fma_f32 v69, v0, v92, -v69
	s_waitcnt lgkmcnt(6)
	v_mul_f32_e32 v79, v3, v135
	v_mul_f32_e32 v91, v146, v94
	v_mul_f32_e32 v92, v146, v93
	v_mul_f32_e32 v78, v3, v136
	v_fma_f32 v79, v2, v136, -v79
	v_fmac_f32_e32 v91, v213, v93
	v_fma_f32 v92, v213, v94, -v92
	v_mul_f32_e32 v93, v144, v138
	v_mul_f32_e32 v94, v144, v137
	s_waitcnt lgkmcnt(4)
	v_mul_f32_e32 v95, v1, v150
	v_mul_f32_e32 v96, v1, v149
	s_waitcnt lgkmcnt(1)
	v_mul_f32_e32 v146, v1, v166
	v_mul_f32_e32 v1, v1, v165
	v_fmac_f32_e32 v78, v2, v135
	v_fmac_f32_e32 v93, v148, v137
	v_fma_f32 v94, v148, v138, -v94
	v_fmac_f32_e32 v95, v0, v149
	v_fma_f32 v96, v0, v150, -v96
	v_mul_f32_e32 v97, v3, v154
	v_mul_f32_e32 v135, v3, v153
	;; [unrolled: 1-line block ×4, first 2 shown]
	v_fmac_f32_e32 v146, v0, v165
	v_fma_f32 v148, v0, v166, -v1
	s_waitcnt lgkmcnt(0)
	v_mul_f32_e32 v149, v3, v170
	v_mul_f32_e32 v0, v3, v169
	v_add_f32_e32 v3, v69, v79
	v_fmac_f32_e32 v136, v4, v151
	v_fma_f32 v137, v4, v152, -v5
	v_mul_f32_e32 v138, v7, v156
	v_mul_f32_e32 v4, v7, v155
	v_add_f32_e32 v1, v68, v78
	v_fma_f32 v3, -0.5, v3, v88
	v_fmac_f32_e32 v97, v2, v153
	v_fma_f32 v135, v2, v154, -v135
	v_fmac_f32_e32 v138, v6, v155
	v_fma_f32 v144, v6, v156, -v4
	;; [unrolled: 2-line block ×3, first 2 shown]
	v_mul_f32_e32 v0, v147, v167
	v_fma_f32 v2, -0.5, v1, v87
	v_sub_f32_e32 v6, v68, v78
	v_mov_b32_e32 v5, v3
	v_add_f32_e32 v7, v91, v93
	v_mul_f32_e32 v151, v147, v168
	v_fma_f32 v147, v145, v168, -v0
	v_mul_f32_e32 v0, v212, v171
	v_sub_f32_e32 v1, v69, v79
	v_mov_b32_e32 v4, v2
	v_fmac_f32_e32 v5, 0x3f5db3d7, v6
	v_fmac_f32_e32 v3, 0xbf5db3d7, v6
	v_add_f32_e32 v6, v89, v91
	v_fma_f32 v89, -0.5, v7, v89
	v_fma_f32 v153, v143, v172, -v0
	v_add_f32_e32 v0, v87, v68
	v_fmac_f32_e32 v4, 0xbf5db3d7, v1
	v_fmac_f32_e32 v2, 0x3f5db3d7, v1
	v_add_f32_e32 v1, v88, v69
	v_sub_f32_e32 v7, v92, v94
	v_mov_b32_e32 v68, v89
	v_add_f32_e32 v88, v96, v135
	v_add_f32_e32 v1, v1, v79
	v_fmac_f32_e32 v68, 0xbf5db3d7, v7
	v_fmac_f32_e32 v89, 0x3f5db3d7, v7
	v_add_f32_e32 v7, v90, v92
	v_add_f32_e32 v69, v92, v94
	;; [unrolled: 1-line block ×3, first 2 shown]
	v_fma_f32 v88, -0.5, v88, v140
	v_add_f32_e32 v0, v0, v78
	v_add_f32_e32 v6, v6, v93
	;; [unrolled: 1-line block ×3, first 2 shown]
	v_fmac_f32_e32 v90, -0.5, v69
	v_sub_f32_e32 v78, v91, v93
	v_fma_f32 v87, -0.5, v79, v139
	v_sub_f32_e32 v93, v95, v97
	v_mov_b32_e32 v92, v88
	v_add_f32_e32 v94, v136, v138
	v_mov_b32_e32 v69, v90
	v_sub_f32_e32 v79, v96, v135
	v_mov_b32_e32 v91, v87
	v_fmac_f32_e32 v92, 0x3f5db3d7, v93
	v_fmac_f32_e32 v88, 0xbf5db3d7, v93
	v_add_f32_e32 v93, v141, v136
	v_fma_f32 v141, -0.5, v94, v141
	v_fmac_f32_e32 v69, 0x3f5db3d7, v78
	v_fmac_f32_e32 v90, 0xbf5db3d7, v78
	v_add_f32_e32 v78, v139, v95
	v_fmac_f32_e32 v91, 0xbf5db3d7, v79
	v_fmac_f32_e32 v87, 0x3f5db3d7, v79
	v_add_f32_e32 v79, v140, v96
	v_sub_f32_e32 v94, v137, v144
	v_mov_b32_e32 v95, v141
	v_add_f32_e32 v96, v137, v144
	v_fmac_f32_e32 v95, 0xbf5db3d7, v94
	v_fmac_f32_e32 v141, 0x3f5db3d7, v94
	v_add_f32_e32 v94, v142, v137
	v_fmac_f32_e32 v142, -0.5, v96
	v_add_f32_e32 v78, v78, v97
	v_sub_f32_e32 v97, v136, v138
	v_mov_b32_e32 v96, v142
	v_fmac_f32_e32 v96, 0x3f5db3d7, v97
	v_fmac_f32_e32 v142, 0xbf5db3d7, v97
	v_add_f32_e32 v97, v157, v146
	v_add_f32_e32 v79, v79, v135
	;; [unrolled: 1-line block ×4, first 2 shown]
	v_fma_f32 v137, -0.5, v97, v157
	v_sub_f32_e32 v97, v148, v150
	v_mov_b32_e32 v139, v137
	v_fmac_f32_e32 v139, 0xbf5db3d7, v97
	v_fmac_f32_e32 v137, 0x3f5db3d7, v97
	v_add_f32_e32 v97, v158, v148
	v_add_f32_e32 v136, v97, v150
	v_add_f32_e32 v97, v148, v150
	v_add_f32_e32 v93, v93, v138
	v_fma_f32 v138, -0.5, v97, v158
	v_fmac_f32_e32 v151, v145, v167
	v_mul_f32_e32 v152, v212, v172
	v_sub_f32_e32 v97, v146, v149
	v_mov_b32_e32 v140, v138
	v_fmac_f32_e32 v152, v143, v171
	v_fmac_f32_e32 v140, 0x3f5db3d7, v97
	;; [unrolled: 1-line block ×3, first 2 shown]
	v_add_f32_e32 v97, v159, v151
	v_add_f32_e32 v143, v97, v152
	;; [unrolled: 1-line block ×3, first 2 shown]
	v_fma_f32 v159, -0.5, v97, v159
	v_sub_f32_e32 v97, v147, v153
	v_mov_b32_e32 v145, v159
	v_fmac_f32_e32 v145, 0xbf5db3d7, v97
	v_fmac_f32_e32 v159, 0x3f5db3d7, v97
	v_add_f32_e32 v97, v160, v147
	v_add_f32_e32 v94, v94, v144
	;; [unrolled: 1-line block ×4, first 2 shown]
	v_fmac_f32_e32 v160, -0.5, v97
	v_sub_f32_e32 v97, v151, v152
	v_mov_b32_e32 v146, v160
	v_fmac_f32_e32 v146, 0x3f5db3d7, v97
	v_fmac_f32_e32 v160, 0xbf5db3d7, v97
	s_barrier
	ds_write2_b64 v214, v[0:1], v[4:5] offset1:32
	ds_write_b64 v214, v[2:3] offset:512
	ds_write2_b64 v215, v[6:7], v[68:69] offset1:32
	ds_write_b64 v215, v[89:90] offset:512
	;; [unrolled: 2-line block ×6, first 2 shown]
	s_waitcnt lgkmcnt(0)
	s_barrier
	ds_read2_b64 v[4:7], v161 offset1:112
	ds_read2_b64 v[87:90], v85 offset0:32 offset1:144
	ds_read2_b64 v[91:94], v71 offset0:64 offset1:176
	;; [unrolled: 1-line block ×7, first 2 shown]
	ds_read2_b64 v[83:86], v86 offset1:112
	s_waitcnt lgkmcnt(7)
	v_mul_f32_e32 v78, v13, v88
	v_mul_f32_e32 v13, v13, v87
	v_fmac_f32_e32 v78, v12, v87
	v_fma_f32 v12, v12, v88, -v13
	s_waitcnt lgkmcnt(6)
	v_mul_f32_e32 v13, v15, v92
	v_mul_f32_e32 v15, v15, v91
	v_fmac_f32_e32 v13, v14, v91
	v_fma_f32 v14, v14, v92, -v15
	v_mul_f32_e32 v15, v9, v90
	v_mul_f32_e32 v9, v9, v89
	v_fmac_f32_e32 v15, v8, v89
	v_fma_f32 v79, v8, v90, -v9
	v_mul_f32_e32 v8, v11, v93
	v_fma_f32 v88, v10, v94, -v8
	s_waitcnt lgkmcnt(4)
	v_mul_f32_e32 v89, v21, v69
	v_mul_f32_e32 v8, v21, v68
	v_fmac_f32_e32 v89, v20, v68
	v_fma_f32 v21, v20, v69, -v8
	s_waitcnt lgkmcnt(3)
	v_mul_f32_e32 v68, v23, v140
	v_mul_f32_e32 v8, v23, v139
	v_fmac_f32_e32 v68, v22, v139
	v_fma_f32 v22, v22, v140, -v8
	v_mul_f32_e32 v69, v17, v71
	v_mul_f32_e32 v8, v17, v70
	v_fmac_f32_e32 v69, v16, v70
	v_fma_f32 v70, v16, v71, -v8
	v_mul_f32_e32 v71, v19, v142
	v_mul_f32_e32 v8, v19, v141
	v_add_f32_e32 v17, v89, v68
	v_fmac_f32_e32 v71, v18, v141
	v_fma_f32 v90, v18, v142, -v8
	v_fma_f32 v18, -0.5, v17, v135
	v_sub_f32_e32 v17, v21, v22
	v_mov_b32_e32 v20, v18
	v_add_f32_e32 v19, v21, v22
	s_waitcnt lgkmcnt(1)
	v_mul_f32_e32 v8, v41, v143
	v_fmac_f32_e32 v20, 0xbf5db3d7, v17
	v_fmac_f32_e32 v18, 0x3f5db3d7, v17
	v_add_f32_e32 v17, v136, v21
	v_fma_f32 v19, -0.5, v19, v136
	v_mul_f32_e32 v91, v41, v144
	v_fma_f32 v41, v40, v144, -v8
	s_waitcnt lgkmcnt(0)
	v_mul_f32_e32 v92, v43, v84
	v_mul_f32_e32 v8, v43, v83
	v_add_f32_e32 v17, v17, v22
	v_sub_f32_e32 v22, v89, v68
	v_mov_b32_e32 v21, v19
	v_add_f32_e32 v23, v69, v71
	v_fmac_f32_e32 v92, v42, v83
	v_fma_f32 v42, v42, v84, -v8
	v_mul_f32_e32 v43, v37, v146
	v_mul_f32_e32 v8, v37, v145
	v_fmac_f32_e32 v21, 0x3f5db3d7, v22
	v_fmac_f32_e32 v19, 0xbf5db3d7, v22
	v_add_f32_e32 v22, v137, v69
	v_fma_f32 v137, -0.5, v23, v137
	v_fmac_f32_e32 v43, v36, v145
	v_fma_f32 v83, v36, v146, -v8
	v_sub_f32_e32 v23, v70, v90
	v_mov_b32_e32 v36, v137
	v_add_f32_e32 v37, v70, v90
	v_fmac_f32_e32 v91, v40, v143
	v_mul_f32_e32 v84, v39, v86
	v_mul_f32_e32 v8, v39, v85
	v_add_f32_e32 v9, v78, v13
	v_fmac_f32_e32 v36, 0xbf5db3d7, v23
	v_fmac_f32_e32 v137, 0x3f5db3d7, v23
	v_add_f32_e32 v23, v138, v70
	v_fmac_f32_e32 v138, -0.5, v37
	v_mul_f32_e32 v87, v11, v94
	v_fmac_f32_e32 v84, v38, v85
	v_fma_f32 v85, v38, v86, -v8
	v_add_f32_e32 v8, v4, v78
	v_fma_f32 v4, -0.5, v9, v4
	v_sub_f32_e32 v38, v69, v71
	v_mov_b32_e32 v37, v138
	v_add_f32_e32 v39, v91, v92
	v_fmac_f32_e32 v87, v10, v93
	v_sub_f32_e32 v9, v12, v14
	v_mov_b32_e32 v10, v4
	v_add_f32_e32 v11, v12, v14
	v_fmac_f32_e32 v37, 0x3f5db3d7, v38
	v_fmac_f32_e32 v138, 0xbf5db3d7, v38
	v_add_f32_e32 v38, v0, v91
	v_fma_f32 v0, -0.5, v39, v0
	v_fmac_f32_e32 v10, 0xbf5db3d7, v9
	v_fmac_f32_e32 v4, 0x3f5db3d7, v9
	v_add_f32_e32 v9, v5, v12
	v_fma_f32 v5, -0.5, v11, v5
	v_sub_f32_e32 v39, v41, v42
	v_mov_b32_e32 v40, v0
	v_add_f32_e32 v8, v8, v13
	v_sub_f32_e32 v12, v78, v13
	v_mov_b32_e32 v11, v5
	v_add_f32_e32 v13, v15, v87
	v_fmac_f32_e32 v40, 0xbf5db3d7, v39
	v_fmac_f32_e32 v0, 0x3f5db3d7, v39
	v_add_f32_e32 v39, v1, v41
	v_add_f32_e32 v41, v41, v42
	v_fmac_f32_e32 v11, 0x3f5db3d7, v12
	v_fmac_f32_e32 v5, 0xbf5db3d7, v12
	v_add_f32_e32 v12, v6, v15
	v_fma_f32 v6, -0.5, v13, v6
	v_fma_f32 v1, -0.5, v41, v1
	v_add_f32_e32 v9, v9, v14
	v_sub_f32_e32 v13, v79, v88
	v_mov_b32_e32 v14, v6
	v_add_f32_e32 v16, v79, v88
	v_add_f32_e32 v39, v39, v42
	v_sub_f32_e32 v42, v91, v92
	v_mov_b32_e32 v41, v1
	v_fmac_f32_e32 v14, 0xbf5db3d7, v13
	v_fmac_f32_e32 v6, 0x3f5db3d7, v13
	v_add_f32_e32 v13, v7, v79
	v_fmac_f32_e32 v7, -0.5, v16
	v_fmac_f32_e32 v41, 0x3f5db3d7, v42
	v_fmac_f32_e32 v1, 0xbf5db3d7, v42
	v_add_f32_e32 v42, v2, v43
	v_sub_f32_e32 v16, v15, v87
	v_mov_b32_e32 v15, v7
	v_add_f32_e32 v70, v42, v84
	v_add_f32_e32 v42, v43, v84
	v_fmac_f32_e32 v15, 0x3f5db3d7, v16
	v_fmac_f32_e32 v7, 0xbf5db3d7, v16
	v_add_f32_e32 v16, v135, v89
	v_fma_f32 v2, -0.5, v42, v2
	v_add_f32_e32 v16, v16, v68
	v_sub_f32_e32 v42, v83, v85
	v_mov_b32_e32 v68, v2
	v_fmac_f32_e32 v68, 0xbf5db3d7, v42
	v_fmac_f32_e32 v2, 0x3f5db3d7, v42
	v_add_f32_e32 v42, v3, v83
	v_add_f32_e32 v22, v22, v71
	;; [unrolled: 1-line block ×4, first 2 shown]
	v_fmac_f32_e32 v3, -0.5, v42
	v_sub_f32_e32 v42, v43, v84
	v_mov_b32_e32 v69, v3
	v_add_f32_e32 v12, v12, v87
	v_add_f32_e32 v13, v13, v88
	;; [unrolled: 1-line block ×4, first 2 shown]
	v_fmac_f32_e32 v69, 0x3f5db3d7, v42
	v_fmac_f32_e32 v3, 0xbf5db3d7, v42
	s_barrier
	ds_write2_b64 v221, v[8:9], v[10:11] offset1:96
	ds_write_b64 v221, v[4:5] offset:1536
	ds_write2_b64 v222, v[12:13], v[14:15] offset1:96
	ds_write_b64 v222, v[6:7] offset:1536
	ds_write2_b64 v223, v[16:17], v[20:21] offset1:96
	ds_write_b64 v223, v[18:19] offset:1536
	ds_write2_b64 v224, v[22:23], v[36:37] offset1:96
	ds_write_b64 v224, v[137:138] offset:1536
	ds_write2_b64 v225, v[38:39], v[40:41] offset1:96
	ds_write_b64 v225, v[0:1] offset:1536
	ds_write2_b64 v226, v[70:71], v[68:69] offset1:96
	ds_write_b64 v226, v[2:3] offset:1536
	v_add_u32_e32 v8, 0x800, v161
	s_waitcnt lgkmcnt(0)
	s_barrier
	ds_read2_b64 v[40:43], v8 offset0:32 offset1:144
	v_add_u32_e32 v8, 0x1000, v161
	ds_read2_b64 v[4:7], v161 offset1:112
	ds_read2_b64 v[36:39], v8 offset0:64 offset1:176
	ds_read2_b64 v[20:23], v81 offset0:96 offset1:208
	;; [unrolled: 1-line block ×3, first 2 shown]
	v_add_u32_e32 v8, 0x2c00, v161
	ds_read2_b64 v[12:15], v8 offset0:32 offset1:144
	v_add_u32_e32 v8, 0x3400, v161
	ds_read2_b64 v[8:11], v8 offset0:64 offset1:176
	s_and_saveexec_b64 s[0:1], vcc
	s_cbranch_execz .LBB0_7
; %bb.6:
	ds_read_b64 v[0:1], v161 offset:1792
	ds_read_b64 v[70:71], v161 offset:4096
	;; [unrolled: 1-line block ×7, first 2 shown]
.LBB0_7:
	s_or_b64 exec, exec, s[0:1]
	s_waitcnt lgkmcnt(6)
	v_mul_f32_e32 v78, v49, v41
	v_fmac_f32_e32 v78, v48, v40
	v_mul_f32_e32 v40, v49, v40
	v_fma_f32 v40, v48, v41, -v40
	s_waitcnt lgkmcnt(4)
	v_mul_f32_e32 v41, v51, v37
	v_fmac_f32_e32 v41, v50, v36
	v_mul_f32_e32 v36, v51, v36
	v_fma_f32 v36, v50, v37, -v36
	;; [unrolled: 5-line block ×6, first 2 shown]
	v_mul_f32_e32 v44, v65, v43
	v_mul_f32_e32 v9, v65, v42
	v_fmac_f32_e32 v44, v64, v42
	v_fma_f32 v42, v64, v43, -v9
	v_mul_f32_e32 v43, v67, v39
	v_mul_f32_e32 v9, v67, v38
	v_fmac_f32_e32 v43, v66, v38
	v_fma_f32 v38, v66, v39, -v9
	;; [unrolled: 4-line block ×3, first 2 shown]
	v_mul_f32_e32 v9, v59, v18
	v_fma_f32 v45, v58, v19, -v9
	v_mul_f32_e32 v9, v53, v14
	v_fma_f32 v47, v52, v15, -v9
	v_mul_f32_e32 v9, v55, v10
	v_mul_f32_e32 v23, v59, v19
	;; [unrolled: 1-line block ×4, first 2 shown]
	v_fma_f32 v49, v54, v11, -v9
	v_add_f32_e32 v9, v78, v13
	v_sub_f32_e32 v11, v78, v13
	v_add_f32_e32 v13, v41, v17
	v_fmac_f32_e32 v23, v58, v18
	v_fmac_f32_e32 v46, v52, v14
	;; [unrolled: 1-line block ×3, first 2 shown]
	v_add_f32_e32 v10, v40, v8
	v_add_f32_e32 v14, v36, v12
	v_sub_f32_e32 v15, v41, v17
	v_add_f32_e32 v17, v37, v21
	v_add_f32_e32 v18, v20, v16
	v_sub_f32_e32 v16, v16, v20
	v_add_f32_e32 v20, v13, v9
	v_sub_f32_e32 v12, v36, v12
	v_sub_f32_e32 v19, v21, v37
	v_add_f32_e32 v21, v14, v10
	v_sub_f32_e32 v36, v13, v9
	v_sub_f32_e32 v9, v9, v17
	;; [unrolled: 1-line block ×3, first 2 shown]
	v_add_f32_e32 v17, v17, v20
	v_sub_f32_e32 v37, v14, v10
	v_sub_f32_e32 v10, v10, v18
	;; [unrolled: 1-line block ×3, first 2 shown]
	v_add_f32_e32 v18, v18, v21
	v_add_f32_e32 v4, v4, v17
	v_sub_f32_e32 v8, v40, v8
	v_add_f32_e32 v40, v19, v15
	v_sub_f32_e32 v50, v19, v15
	v_sub_f32_e32 v15, v15, v11
	v_add_f32_e32 v5, v5, v18
	v_mov_b32_e32 v52, v4
	v_add_f32_e32 v41, v16, v12
	v_sub_f32_e32 v51, v16, v12
	v_sub_f32_e32 v19, v11, v19
	;; [unrolled: 1-line block ×3, first 2 shown]
	v_add_f32_e32 v11, v40, v11
	v_mul_f32_e32 v9, 0x3f4a47b2, v9
	v_mul_f32_e32 v10, 0x3f4a47b2, v10
	;; [unrolled: 1-line block ×5, first 2 shown]
	s_mov_b32 s4, 0xbf5ff5aa
	v_mul_f32_e32 v50, 0xbf5ff5aa, v15
	v_fmac_f32_e32 v52, 0xbf955555, v17
	v_mov_b32_e32 v17, v5
	s_mov_b32 s5, 0x3f3bfb3b
	s_mov_b32 s6, 0xbf3bfb3b
	;; [unrolled: 1-line block ×3, first 2 shown]
	v_sub_f32_e32 v16, v8, v16
	v_add_f32_e32 v8, v41, v8
	v_mul_f32_e32 v41, 0x3f08b237, v51
	v_mul_f32_e32 v51, 0xbf5ff5aa, v12
	v_fmac_f32_e32 v17, 0xbf955555, v18
	v_fma_f32 v18, v36, s5, -v20
	v_fma_f32 v20, v37, s5, -v21
	;; [unrolled: 1-line block ×3, first 2 shown]
	v_fmac_f32_e32 v9, 0x3d64c772, v13
	v_fma_f32 v13, v37, s6, -v10
	v_fmac_f32_e32 v10, 0x3d64c772, v14
	v_fma_f32 v15, v15, s4, -v40
	;; [unrolled: 2-line block ×3, first 2 shown]
	v_fma_f32 v14, v12, s4, -v41
	v_fmac_f32_e32 v41, 0xbeae86e6, v16
	v_fma_f32 v16, v16, s7, -v51
	v_add_f32_e32 v37, v10, v17
	v_add_f32_e32 v20, v20, v17
	v_add_f32_e32 v17, v13, v17
	v_fmac_f32_e32 v40, 0xbee1c552, v11
	v_fmac_f32_e32 v15, 0xbee1c552, v11
	;; [unrolled: 1-line block ×3, first 2 shown]
	v_add_f32_e32 v36, v9, v52
	v_add_f32_e32 v18, v18, v52
	;; [unrolled: 1-line block ×3, first 2 shown]
	v_fmac_f32_e32 v41, 0xbee1c552, v8
	v_fmac_f32_e32 v14, 0xbee1c552, v8
	v_fmac_f32_e32 v16, 0xbee1c552, v8
	v_sub_f32_e32 v9, v37, v40
	v_sub_f32_e32 v11, v17, v19
	v_add_f32_e32 v13, v15, v20
	v_sub_f32_e32 v15, v20, v15
	v_add_f32_e32 v17, v19, v17
	v_add_f32_e32 v19, v40, v37
	;; [unrolled: 1-line block ×6, first 2 shown]
	v_sub_f32_e32 v12, v18, v14
	v_add_f32_e32 v14, v14, v18
	v_sub_f32_e32 v16, v21, v16
	v_sub_f32_e32 v18, v36, v41
	v_add_f32_e32 v21, v42, v49
	v_sub_f32_e32 v37, v42, v49
	v_add_f32_e32 v41, v38, v47
	;; [unrolled: 2-line block ×6, first 2 shown]
	v_add_f32_e32 v39, v43, v39
	v_sub_f32_e32 v38, v38, v47
	v_sub_f32_e32 v46, v40, v20
	;; [unrolled: 1-line block ×4, first 2 shown]
	v_add_f32_e32 v43, v44, v45
	v_add_f32_e32 v6, v6, v39
	v_sub_f32_e32 v47, v41, v21
	v_sub_f32_e32 v21, v21, v44
	;; [unrolled: 1-line block ×3, first 2 shown]
	v_add_f32_e32 v48, v23, v42
	v_add_f32_e32 v49, v22, v38
	v_sub_f32_e32 v50, v23, v42
	v_sub_f32_e32 v51, v22, v38
	;; [unrolled: 1-line block ×4, first 2 shown]
	v_add_f32_e32 v7, v7, v43
	v_mov_b32_e32 v52, v6
	v_sub_f32_e32 v23, v36, v23
	v_sub_f32_e32 v22, v37, v22
	v_add_f32_e32 v36, v48, v36
	v_add_f32_e32 v37, v49, v37
	v_mul_f32_e32 v20, 0x3f4a47b2, v20
	v_mul_f32_e32 v21, 0x3f4a47b2, v21
	;; [unrolled: 1-line block ×8, first 2 shown]
	v_fmac_f32_e32 v52, 0xbf955555, v39
	v_mov_b32_e32 v39, v7
	v_fmac_f32_e32 v39, 0xbf955555, v43
	v_fma_f32 v43, v46, s5, -v44
	v_fma_f32 v44, v47, s5, -v45
	;; [unrolled: 1-line block ×3, first 2 shown]
	v_fmac_f32_e32 v20, 0x3d64c772, v40
	v_fma_f32 v40, v47, s6, -v21
	v_fmac_f32_e32 v21, 0x3d64c772, v41
	v_fma_f32 v41, v42, s4, -v48
	;; [unrolled: 2-line block ×4, first 2 shown]
	v_fma_f32 v46, v22, s7, -v51
	v_add_f32_e32 v47, v20, v52
	v_add_f32_e32 v50, v21, v39
	v_add_f32_e32 v43, v43, v52
	v_add_f32_e32 v44, v44, v39
	v_add_f32_e32 v45, v45, v52
	v_add_f32_e32 v51, v40, v39
	v_fmac_f32_e32 v48, 0xbee1c552, v36
	v_fmac_f32_e32 v49, 0xbee1c552, v37
	;; [unrolled: 1-line block ×6, first 2 shown]
	v_add_f32_e32 v20, v49, v47
	v_sub_f32_e32 v21, v50, v48
	v_add_f32_e32 v22, v46, v45
	v_sub_f32_e32 v23, v51, v42
	v_sub_f32_e32 v36, v43, v38
	v_add_f32_e32 v37, v41, v44
	v_add_f32_e32 v38, v38, v43
	v_sub_f32_e32 v39, v44, v41
	v_sub_f32_e32 v40, v45, v46
	v_add_f32_e32 v41, v42, v51
	v_sub_f32_e32 v42, v47, v49
	v_add_f32_e32 v43, v48, v50
	ds_write_b64 v161, v[4:5]
	ds_write_b64 v80, v[8:9] offset:2304
	ds_write_b64 v80, v[10:11] offset:4608
	;; [unrolled: 1-line block ×13, first 2 shown]
	s_and_saveexec_b64 s[0:1], vcc
	s_cbranch_execz .LBB0_9
; %bb.8:
	v_mul_f32_e32 v4, v25, v71
	v_mul_f32_e32 v5, v35, v77
	;; [unrolled: 1-line block ×4, first 2 shown]
	v_fmac_f32_e32 v4, v24, v70
	v_fmac_f32_e32 v5, v34, v76
	v_fmac_f32_e32 v7, v30, v74
	v_fmac_f32_e32 v8, v28, v2
	v_sub_f32_e32 v6, v4, v5
	v_mul_f32_e32 v11, v27, v69
	v_mul_f32_e32 v12, v33, v73
	;; [unrolled: 1-line block ×3, first 2 shown]
	v_add_f32_e32 v4, v5, v4
	v_add_f32_e32 v5, v8, v7
	v_sub_f32_e32 v9, v7, v8
	v_fmac_f32_e32 v11, v26, v68
	v_fmac_f32_e32 v12, v32, v72
	v_mul_f32_e32 v16, v35, v76
	v_mul_f32_e32 v17, v25, v70
	v_fma_f32 v2, v28, v3, -v2
	v_mul_f32_e32 v3, v31, v74
	v_sub_f32_e32 v7, v4, v5
	v_fma_f32 v16, v34, v77, -v16
	v_fma_f32 v17, v24, v71, -v17
	;; [unrolled: 1-line block ×3, first 2 shown]
	v_mul_f32_e32 v7, 0x3f4a47b2, v7
	v_add_f32_e32 v8, v12, v11
	v_sub_f32_e32 v13, v11, v12
	v_add_f32_e32 v18, v16, v17
	v_add_f32_e32 v3, v2, v19
	v_mul_f32_e32 v21, v33, v72
	v_mul_f32_e32 v22, v27, v68
	v_sub_f32_e32 v11, v5, v8
	v_mov_b32_e32 v27, v7
	v_sub_f32_e32 v20, v18, v3
	v_fma_f32 v21, v32, v73, -v21
	v_fma_f32 v22, v26, v69, -v22
	v_mul_f32_e32 v12, 0x3d64c772, v11
	v_fmac_f32_e32 v27, 0x3d64c772, v11
	v_add_f32_e32 v11, v8, v4
	v_mul_f32_e32 v20, 0x3f4a47b2, v20
	v_add_f32_e32 v23, v21, v22
	v_add_f32_e32 v5, v5, v11
	v_sub_f32_e32 v24, v3, v23
	v_mov_b32_e32 v26, v20
	v_add_f32_e32 v0, v0, v5
	v_sub_f32_e32 v10, v6, v9
	v_sub_f32_e32 v14, v9, v13
	v_add_f32_e32 v9, v9, v13
	v_mul_f32_e32 v25, 0x3d64c772, v24
	v_fmac_f32_e32 v26, 0x3d64c772, v24
	v_add_f32_e32 v24, v23, v18
	v_mov_b32_e32 v11, v0
	v_sub_f32_e32 v16, v17, v16
	v_sub_f32_e32 v2, v19, v2
	;; [unrolled: 1-line block ×3, first 2 shown]
	v_mul_f32_e32 v14, 0x3f08b237, v14
	v_add_f32_e32 v9, v9, v6
	v_add_f32_e32 v3, v3, v24
	v_fmac_f32_e32 v11, 0xbf955555, v5
	v_sub_f32_e32 v17, v16, v2
	v_sub_f32_e32 v5, v2, v19
	v_add_f32_e32 v2, v2, v19
	v_sub_f32_e32 v6, v13, v6
	v_sub_f32_e32 v8, v8, v4
	v_mov_b32_e32 v15, v14
	v_add_f32_e32 v1, v1, v3
	v_mul_f32_e32 v21, 0x3f08b237, v5
	v_add_f32_e32 v28, v2, v16
	v_mul_f32_e32 v5, 0xbf5ff5aa, v6
	v_sub_f32_e32 v13, v23, v18
	v_fma_f32 v4, v8, s6, -v7
	v_sub_f32_e32 v16, v19, v16
	v_fmac_f32_e32 v15, 0xbeae86e6, v10
	v_mov_b32_e32 v24, v1
	v_mov_b32_e32 v22, v21
	v_fma_f32 v10, v10, s7, -v5
	v_fma_f32 v5, v13, s6, -v20
	v_add_f32_e32 v20, v4, v11
	v_mul_f32_e32 v4, 0xbf5ff5aa, v16
	v_fmac_f32_e32 v24, 0xbf955555, v3
	v_fmac_f32_e32 v22, 0xbeae86e6, v17
	v_fma_f32 v17, v17, s7, -v4
	v_fma_f32 v7, v13, s5, -v25
	;; [unrolled: 1-line block ×5, first 2 shown]
	v_fmac_f32_e32 v15, 0xbee1c552, v9
	v_add_f32_e32 v26, v26, v24
	v_add_f32_e32 v27, v27, v11
	v_fmac_f32_e32 v22, 0xbee1c552, v28
	v_fmac_f32_e32 v10, 0xbee1c552, v9
	v_add_f32_e32 v18, v5, v24
	v_fmac_f32_e32 v17, 0xbee1c552, v28
	v_add_f32_e32 v13, v7, v24
	v_fmac_f32_e32 v14, 0xbee1c552, v9
	v_fmac_f32_e32 v16, 0xbee1c552, v28
	v_add_f32_e32 v8, v6, v11
	v_add_f32_e32 v3, v15, v26
	v_sub_f32_e32 v2, v27, v22
	v_add_f32_e32 v5, v10, v18
	v_sub_f32_e32 v4, v20, v17
	v_sub_f32_e32 v7, v13, v14
	v_add_f32_e32 v6, v16, v8
	v_add_f32_e32 v9, v14, v13
	v_sub_f32_e32 v8, v8, v16
	v_sub_f32_e32 v11, v18, v10
	v_add_f32_e32 v10, v17, v20
	v_sub_f32_e32 v13, v26, v15
	v_add_f32_e32 v12, v22, v27
	ds_write_b64 v161, v[0:1] offset:1792
	ds_write_b64 v80, v[12:13] offset:4096
	ds_write_b64 v80, v[10:11] offset:6400
	ds_write_b64 v80, v[8:9] offset:8704
	ds_write_b64 v80, v[6:7] offset:11008
	ds_write_b64 v80, v[4:5] offset:13312
	ds_write_b64 v80, v[2:3] offset:15616
.LBB0_9:
	s_or_b64 exec, exec, s[0:1]
	s_waitcnt lgkmcnt(0)
	s_barrier
	ds_read2_b64 v[0:3], v161 offset1:112
	v_mad_u64_u32 v[8:9], s[0:1], s10, v110, 0
	s_mov_b32 s0, 0x10410410
	s_mov_b32 s1, 0x3f404104
	s_waitcnt lgkmcnt(0)
	v_mul_f32_e32 v5, v134, v1
	v_fmac_f32_e32 v5, v133, v0
	v_cvt_f64_f32_e32 v[5:6], v5
	v_mul_f32_e32 v0, v134, v0
	v_fma_f32 v0, v133, v1, -v0
	v_cvt_f64_f32_e32 v[0:1], v0
	v_mul_f64 v[5:6], v[5:6], s[0:1]
	v_mov_b32_e32 v4, v9
	v_mov_b32_e32 v14, s3
	v_mul_f64 v[0:1], v[0:1], s[0:1]
	s_mul_i32 s3, s9, 0xffffe400
	v_mad_u64_u32 v[9:10], s[4:5], s11, v110, v[4:5]
	v_mad_u64_u32 v[10:11], s[4:5], s8, v164, 0
	v_cvt_f32_f64_e32 v13, v[0:1]
	v_cvt_f32_f64_e32 v12, v[5:6]
	v_mov_b32_e32 v0, v11
	v_mad_u64_u32 v[0:1], s[4:5], s9, v164, v[0:1]
	v_add_u32_e32 v1, 0x1800, v161
	ds_read2_b64 v[4:7], v1 offset0:128 offset1:240
	v_mov_b32_e32 v11, v0
	v_lshlrev_b64 v[0:1], 3, v[8:9]
	s_mul_hi_u32 s4, s8, 0x1f80
	v_add_co_u32_e32 v16, vcc, s2, v0
	s_waitcnt lgkmcnt(0)
	v_mul_f32_e32 v8, v128, v7
	v_fmac_f32_e32 v8, v127, v6
	v_mul_f32_e32 v6, v128, v6
	v_fma_f32 v6, v127, v7, -v6
	v_cvt_f64_f32_e32 v[8:9], v8
	v_cvt_f64_f32_e32 v[6:7], v6
	v_addc_co_u32_e32 v17, vcc, v14, v1, vcc
	v_mul_f64 v[0:1], v[8:9], s[0:1]
	v_mul_f64 v[6:7], v[6:7], s[0:1]
	v_lshlrev_b64 v[8:9], 3, v[10:11]
	s_mul_i32 s2, s9, 0x1f80
	v_add_co_u32_e32 v8, vcc, v16, v8
	v_addc_co_u32_e32 v9, vcc, v17, v9, vcc
	v_cvt_f32_f64_e32 v0, v[0:1]
	v_cvt_f32_f64_e32 v1, v[6:7]
	v_mul_f32_e32 v6, v126, v3
	v_fmac_f32_e32 v6, v125, v2
	v_mul_f32_e32 v2, v126, v2
	v_fma_f32 v2, v125, v3, -v2
	v_cvt_f64_f32_e32 v[2:3], v2
	v_cvt_f64_f32_e32 v[6:7], v6
	s_add_i32 s4, s4, s2
	s_mul_i32 s2, s8, 0x1f80
	v_mul_f64 v[2:3], v[2:3], s[0:1]
	v_mul_f64 v[6:7], v[6:7], s[0:1]
	v_mov_b32_e32 v11, s4
	v_add_co_u32_e32 v10, vcc, s2, v8
	v_addc_co_u32_e32 v11, vcc, v9, v11, vcc
	global_store_dwordx2 v[8:9], v[12:13], off
	global_store_dwordx2 v[10:11], v[0:1], off
	v_add_u32_e32 v0, 0x2000, v161
	v_cvt_f32_f64_e32 v13, v[2:3]
	ds_read2_b64 v[0:3], v0 offset0:96 offset1:208
	v_cvt_f32_f64_e32 v12, v[6:7]
	s_mul_hi_u32 s5, s8, 0xffffe400
	s_sub_i32 s5, s5, s8
	s_add_i32 s3, s5, s3
	s_waitcnt lgkmcnt(0)
	v_mul_f32_e32 v6, v122, v1
	v_fmac_f32_e32 v6, v121, v0
	v_cvt_f64_f32_e32 v[6:7], v6
	v_mul_f32_e32 v0, v122, v0
	v_fma_f32 v0, v121, v1, -v0
	v_cvt_f64_f32_e32 v[0:1], v0
	v_mul_f64 v[14:15], v[6:7], s[0:1]
	v_add_u32_e32 v6, 0x400, v161
	ds_read2_b64 v[6:9], v6 offset0:96 offset1:208
	s_mul_i32 s5, s8, 0xffffe400
	v_mov_b32_e32 v18, s3
	v_mul_f64 v[0:1], v[0:1], s[0:1]
	v_add_co_u32_e32 v10, vcc, s5, v10
	v_addc_co_u32_e32 v11, vcc, v11, v18, vcc
	global_store_dwordx2 v[10:11], v[12:13], off
	s_waitcnt lgkmcnt(0)
	v_mul_f32_e32 v12, v120, v7
	v_fmac_f32_e32 v12, v119, v6
	v_cvt_f64_f32_e32 v[12:13], v12
	v_mul_f32_e32 v6, v120, v6
	v_fma_f32 v6, v119, v7, -v6
	v_cvt_f32_f64_e32 v14, v[14:15]
	v_cvt_f32_f64_e32 v15, v[0:1]
	v_mul_f64 v[0:1], v[12:13], s[0:1]
	v_cvt_f64_f32_e32 v[6:7], v6
	v_mov_b32_e32 v18, s4
	v_add_co_u32_e32 v10, vcc, s2, v10
	v_mul_f64 v[6:7], v[6:7], s[0:1]
	v_addc_co_u32_e32 v11, vcc, v11, v18, vcc
	v_cvt_f32_f64_e32 v0, v[0:1]
	v_mul_f32_e32 v1, v124, v3
	v_fmac_f32_e32 v1, v123, v2
	v_cvt_f64_f32_e32 v[12:13], v1
	v_mul_f32_e32 v1, v124, v2
	v_fma_f32 v1, v123, v3, -v1
	v_cvt_f64_f32_e32 v[2:3], v1
	v_cvt_f32_f64_e32 v1, v[6:7]
	global_store_dwordx2 v[10:11], v[14:15], off
	v_mov_b32_e32 v14, s3
	v_add_co_u32_e32 v10, vcc, s5, v10
	v_addc_co_u32_e32 v11, vcc, v11, v14, vcc
	v_mul_f64 v[6:7], v[12:13], s[0:1]
	v_mul_f64 v[2:3], v[2:3], s[0:1]
	global_store_dwordx2 v[10:11], v[0:1], off
	v_mul_f32_e32 v0, v116, v9
	v_fmac_f32_e32 v0, v115, v8
	v_cvt_f64_f32_e32 v[0:1], v0
	v_mov_b32_e32 v14, s4
	v_add_co_u32_e32 v10, vcc, s2, v10
	v_mul_f64 v[12:13], v[0:1], s[0:1]
	v_mul_f32_e32 v0, v116, v8
	v_fma_f32 v0, v115, v9, -v0
	v_cvt_f32_f64_e32 v6, v[6:7]
	v_cvt_f32_f64_e32 v7, v[2:3]
	v_cvt_f64_f32_e32 v[8:9], v0
	v_add_u32_e32 v0, 0x2800, v161
	ds_read2_b64 v[0:3], v0 offset0:64 offset1:176
	v_addc_co_u32_e32 v11, vcc, v11, v14, vcc
	global_store_dwordx2 v[10:11], v[6:7], off
	v_mul_f64 v[6:7], v[8:9], s[0:1]
	s_waitcnt lgkmcnt(0)
	v_mul_f32_e32 v8, v112, v1
	v_fmac_f32_e32 v8, v111, v0
	v_cvt_f64_f32_e32 v[8:9], v8
	v_mul_f32_e32 v0, v112, v0
	v_fma_f32 v0, v111, v1, -v0
	v_cvt_f32_f64_e32 v12, v[12:13]
	v_cvt_f64_f32_e32 v[0:1], v0
	v_cvt_f32_f64_e32 v13, v[6:7]
	v_add_u32_e32 v6, 0xc00, v161
	v_mul_f64 v[14:15], v[8:9], s[0:1]
	ds_read2_b64 v[6:9], v6 offset0:64 offset1:176
	v_mov_b32_e32 v18, s3
	v_mul_f64 v[0:1], v[0:1], s[0:1]
	v_add_co_u32_e32 v10, vcc, s5, v10
	v_addc_co_u32_e32 v11, vcc, v11, v18, vcc
	global_store_dwordx2 v[10:11], v[12:13], off
	s_waitcnt lgkmcnt(0)
	v_mul_f32_e32 v12, v132, v7
	v_fmac_f32_e32 v12, v131, v6
	v_cvt_f64_f32_e32 v[12:13], v12
	v_mul_f32_e32 v6, v132, v6
	v_fma_f32 v6, v131, v7, -v6
	v_cvt_f32_f64_e32 v14, v[14:15]
	v_cvt_f32_f64_e32 v15, v[0:1]
	v_mul_f64 v[0:1], v[12:13], s[0:1]
	v_cvt_f64_f32_e32 v[6:7], v6
	v_mov_b32_e32 v18, s4
	v_add_co_u32_e32 v10, vcc, s2, v10
	v_mul_f64 v[6:7], v[6:7], s[0:1]
	v_addc_co_u32_e32 v11, vcc, v11, v18, vcc
	v_cvt_f32_f64_e32 v0, v[0:1]
	v_mul_f32_e32 v1, v107, v3
	v_fmac_f32_e32 v1, v106, v2
	v_cvt_f64_f32_e32 v[12:13], v1
	v_mul_f32_e32 v1, v107, v2
	v_fma_f32 v1, v106, v3, -v1
	v_cvt_f64_f32_e32 v[2:3], v1
	v_cvt_f32_f64_e32 v1, v[6:7]
	global_store_dwordx2 v[10:11], v[14:15], off
	v_mov_b32_e32 v14, s3
	v_add_co_u32_e32 v10, vcc, s5, v10
	v_addc_co_u32_e32 v11, vcc, v11, v14, vcc
	v_mul_f64 v[6:7], v[12:13], s[0:1]
	v_mul_f64 v[2:3], v[2:3], s[0:1]
	global_store_dwordx2 v[10:11], v[0:1], off
	v_mul_f32_e32 v0, v105, v9
	v_fmac_f32_e32 v0, v104, v8
	v_cvt_f64_f32_e32 v[0:1], v0
	v_mov_b32_e32 v14, s4
	v_add_co_u32_e32 v10, vcc, s2, v10
	v_mul_f64 v[12:13], v[0:1], s[0:1]
	v_mul_f32_e32 v0, v105, v8
	v_fma_f32 v0, v104, v9, -v0
	v_cvt_f32_f64_e32 v6, v[6:7]
	v_cvt_f32_f64_e32 v7, v[2:3]
	v_cvt_f64_f32_e32 v[8:9], v0
	v_add_u32_e32 v0, 0x3000, v161
	ds_read2_b64 v[0:3], v0 offset0:32 offset1:144
	v_addc_co_u32_e32 v11, vcc, v11, v14, vcc
	global_store_dwordx2 v[10:11], v[6:7], off
	v_mul_f64 v[6:7], v[8:9], s[0:1]
	s_waitcnt lgkmcnt(0)
	v_mul_f32_e32 v8, v130, v1
	v_fmac_f32_e32 v8, v129, v0
	v_cvt_f64_f32_e32 v[8:9], v8
	v_mul_f32_e32 v0, v130, v0
	v_fma_f32 v0, v129, v1, -v0
	v_cvt_f32_f64_e32 v12, v[12:13]
	v_cvt_f64_f32_e32 v[0:1], v0
	v_cvt_f32_f64_e32 v13, v[6:7]
	v_add_u32_e32 v6, 0x1400, v161
	v_mul_f64 v[14:15], v[8:9], s[0:1]
	ds_read2_b64 v[6:9], v6 offset0:32 offset1:144
	v_mov_b32_e32 v18, s3
	v_mul_f64 v[0:1], v[0:1], s[0:1]
	v_add_co_u32_e32 v10, vcc, s5, v10
	v_addc_co_u32_e32 v11, vcc, v11, v18, vcc
	global_store_dwordx2 v[10:11], v[12:13], off
	s_waitcnt lgkmcnt(0)
	v_mul_f32_e32 v12, v101, v7
	v_fmac_f32_e32 v12, v100, v6
	v_cvt_f64_f32_e32 v[12:13], v12
	v_mul_f32_e32 v6, v101, v6
	v_fma_f32 v6, v100, v7, -v6
	v_cvt_f32_f64_e32 v14, v[14:15]
	v_cvt_f32_f64_e32 v15, v[0:1]
	v_mul_f64 v[0:1], v[12:13], s[0:1]
	v_cvt_f64_f32_e32 v[6:7], v6
	v_mov_b32_e32 v18, s4
	v_add_co_u32_e32 v10, vcc, s2, v10
	v_mul_f64 v[6:7], v[6:7], s[0:1]
	v_addc_co_u32_e32 v11, vcc, v11, v18, vcc
	v_cvt_f32_f64_e32 v0, v[0:1]
	v_mul_f32_e32 v1, v118, v3
	v_fmac_f32_e32 v1, v117, v2
	v_cvt_f64_f32_e32 v[12:13], v1
	v_mul_f32_e32 v1, v118, v2
	v_fma_f32 v1, v117, v3, -v1
	v_cvt_f64_f32_e32 v[2:3], v1
	v_cvt_f32_f64_e32 v1, v[6:7]
	global_store_dwordx2 v[10:11], v[14:15], off
	v_mov_b32_e32 v14, s3
	v_add_co_u32_e32 v10, vcc, s5, v10
	v_addc_co_u32_e32 v11, vcc, v11, v14, vcc
	global_store_dwordx2 v[10:11], v[0:1], off
	v_mul_f32_e32 v0, v99, v9
	v_mul_f64 v[6:7], v[12:13], s[0:1]
	v_mul_f64 v[2:3], v[2:3], s[0:1]
	v_fmac_f32_e32 v0, v98, v8
	v_cvt_f64_f32_e32 v[0:1], v0
	v_mov_b32_e32 v14, s4
	v_add_co_u32_e32 v10, vcc, s2, v10
	v_mul_f64 v[12:13], v[0:1], s[0:1]
	v_mul_f32_e32 v0, v99, v8
	v_fma_f32 v0, v98, v9, -v0
	v_cvt_f64_f32_e32 v[8:9], v0
	v_add_u32_e32 v0, 0x3800, v161
	v_cvt_f32_f64_e32 v6, v[6:7]
	v_cvt_f32_f64_e32 v7, v[2:3]
	ds_read2_b64 v[0:3], v0 offset1:112
	v_addc_co_u32_e32 v11, vcc, v11, v14, vcc
	global_store_dwordx2 v[10:11], v[6:7], off
	v_mul_f64 v[6:7], v[8:9], s[0:1]
	s_waitcnt lgkmcnt(0)
	v_mul_f32_e32 v9, v114, v1
	v_fmac_f32_e32 v9, v113, v0
	v_mul_f32_e32 v0, v114, v0
	v_fma_f32 v0, v113, v1, -v0
	v_cvt_f32_f64_e32 v8, v[12:13]
	v_cvt_f64_f32_e32 v[12:13], v9
	v_cvt_f64_f32_e32 v[0:1], v0
	v_cvt_f32_f64_e32 v9, v[6:7]
	v_mov_b32_e32 v14, s3
	v_mul_f64 v[6:7], v[12:13], s[0:1]
	v_mul_f64 v[0:1], v[0:1], s[0:1]
	v_add_co_u32_e32 v10, vcc, s5, v10
	v_addc_co_u32_e32 v11, vcc, v11, v14, vcc
	global_store_dwordx2 v[10:11], v[8:9], off
	v_mad_u64_u32 v[8:9], s[2:3], s8, v163, 0
	v_cvt_f32_f64_e32 v6, v[6:7]
	v_cvt_f32_f64_e32 v7, v[0:1]
	v_mov_b32_e32 v0, v9
	v_mad_u64_u32 v[0:1], s[2:3], s9, v163, v[0:1]
	v_mul_f32_e32 v1, v109, v5
	v_fmac_f32_e32 v1, v108, v4
	v_cvt_f64_f32_e32 v[12:13], v1
	v_mul_f32_e32 v1, v109, v4
	v_fma_f32 v1, v108, v5, -v1
	v_cvt_f64_f32_e32 v[4:5], v1
	v_mov_b32_e32 v9, v0
	v_lshlrev_b64 v[0:1], 3, v[8:9]
	v_mul_f64 v[8:9], v[12:13], s[0:1]
	v_mul_f64 v[4:5], v[4:5], s[0:1]
	v_add_co_u32_e32 v0, vcc, v16, v0
	v_addc_co_u32_e32 v1, vcc, v17, v1, vcc
	global_store_dwordx2 v[0:1], v[6:7], off
	v_mad_u64_u32 v[0:1], s[2:3], s8, v162, 0
	v_cvt_f32_f64_e32 v7, v[4:5]
	v_cvt_f32_f64_e32 v6, v[8:9]
	v_mad_u64_u32 v[4:5], s[2:3], s9, v162, v[1:2]
	v_mul_f32_e32 v1, v103, v3
	v_fmac_f32_e32 v1, v102, v2
	v_cvt_f64_f32_e32 v[8:9], v1
	v_mul_f32_e32 v1, v103, v2
	v_fma_f32 v1, v102, v3, -v1
	v_cvt_f64_f32_e32 v[2:3], v1
	v_mul_f64 v[8:9], v[8:9], s[0:1]
	v_mov_b32_e32 v5, 0x2300
	v_mov_b32_e32 v1, v4
	v_mul_f64 v[2:3], v[2:3], s[0:1]
	v_lshlrev_b64 v[0:1], 3, v[0:1]
	v_add_co_u32_e32 v0, vcc, v16, v0
	v_cvt_f32_f64_e32 v4, v[8:9]
	v_mad_u64_u32 v[8:9], s[0:1], s8, v5, v[10:11]
	v_cvt_f32_f64_e32 v5, v[2:3]
	s_mul_i32 s0, s9, 0x2300
	v_addc_co_u32_e32 v1, vcc, v17, v1, vcc
	v_add_u32_e32 v9, s0, v9
	global_store_dwordx2 v[0:1], v[6:7], off
	global_store_dwordx2 v[8:9], v[4:5], off
.LBB0_10:
	s_endpgm
	.section	.rodata,"a",@progbits
	.p2align	6, 0x0
	.amdhsa_kernel bluestein_single_fwd_len2016_dim1_sp_op_CI_CI
		.amdhsa_group_segment_fixed_size 32256
		.amdhsa_private_segment_fixed_size 0
		.amdhsa_kernarg_size 104
		.amdhsa_user_sgpr_count 6
		.amdhsa_user_sgpr_private_segment_buffer 1
		.amdhsa_user_sgpr_dispatch_ptr 0
		.amdhsa_user_sgpr_queue_ptr 0
		.amdhsa_user_sgpr_kernarg_segment_ptr 1
		.amdhsa_user_sgpr_dispatch_id 0
		.amdhsa_user_sgpr_flat_scratch_init 0
		.amdhsa_user_sgpr_private_segment_size 0
		.amdhsa_uses_dynamic_stack 0
		.amdhsa_system_sgpr_private_segment_wavefront_offset 0
		.amdhsa_system_sgpr_workgroup_id_x 1
		.amdhsa_system_sgpr_workgroup_id_y 0
		.amdhsa_system_sgpr_workgroup_id_z 0
		.amdhsa_system_sgpr_workgroup_info 0
		.amdhsa_system_vgpr_workitem_id 0
		.amdhsa_next_free_vgpr 247
		.amdhsa_next_free_sgpr 20
		.amdhsa_reserve_vcc 1
		.amdhsa_reserve_flat_scratch 0
		.amdhsa_float_round_mode_32 0
		.amdhsa_float_round_mode_16_64 0
		.amdhsa_float_denorm_mode_32 3
		.amdhsa_float_denorm_mode_16_64 3
		.amdhsa_dx10_clamp 1
		.amdhsa_ieee_mode 1
		.amdhsa_fp16_overflow 0
		.amdhsa_exception_fp_ieee_invalid_op 0
		.amdhsa_exception_fp_denorm_src 0
		.amdhsa_exception_fp_ieee_div_zero 0
		.amdhsa_exception_fp_ieee_overflow 0
		.amdhsa_exception_fp_ieee_underflow 0
		.amdhsa_exception_fp_ieee_inexact 0
		.amdhsa_exception_int_div_zero 0
	.end_amdhsa_kernel
	.text
.Lfunc_end0:
	.size	bluestein_single_fwd_len2016_dim1_sp_op_CI_CI, .Lfunc_end0-bluestein_single_fwd_len2016_dim1_sp_op_CI_CI
                                        ; -- End function
	.section	.AMDGPU.csdata,"",@progbits
; Kernel info:
; codeLenInByte = 19204
; NumSgprs: 24
; NumVgprs: 247
; ScratchSize: 0
; MemoryBound: 0
; FloatMode: 240
; IeeeMode: 1
; LDSByteSize: 32256 bytes/workgroup (compile time only)
; SGPRBlocks: 2
; VGPRBlocks: 61
; NumSGPRsForWavesPerEU: 24
; NumVGPRsForWavesPerEU: 247
; Occupancy: 1
; WaveLimiterHint : 1
; COMPUTE_PGM_RSRC2:SCRATCH_EN: 0
; COMPUTE_PGM_RSRC2:USER_SGPR: 6
; COMPUTE_PGM_RSRC2:TRAP_HANDLER: 0
; COMPUTE_PGM_RSRC2:TGID_X_EN: 1
; COMPUTE_PGM_RSRC2:TGID_Y_EN: 0
; COMPUTE_PGM_RSRC2:TGID_Z_EN: 0
; COMPUTE_PGM_RSRC2:TIDIG_COMP_CNT: 0
	.type	__hip_cuid_392a2a824d92273b,@object ; @__hip_cuid_392a2a824d92273b
	.section	.bss,"aw",@nobits
	.globl	__hip_cuid_392a2a824d92273b
__hip_cuid_392a2a824d92273b:
	.byte	0                               ; 0x0
	.size	__hip_cuid_392a2a824d92273b, 1

	.ident	"AMD clang version 19.0.0git (https://github.com/RadeonOpenCompute/llvm-project roc-6.4.0 25133 c7fe45cf4b819c5991fe208aaa96edf142730f1d)"
	.section	".note.GNU-stack","",@progbits
	.addrsig
	.addrsig_sym __hip_cuid_392a2a824d92273b
	.amdgpu_metadata
---
amdhsa.kernels:
  - .args:
      - .actual_access:  read_only
        .address_space:  global
        .offset:         0
        .size:           8
        .value_kind:     global_buffer
      - .actual_access:  read_only
        .address_space:  global
        .offset:         8
        .size:           8
        .value_kind:     global_buffer
      - .actual_access:  read_only
        .address_space:  global
        .offset:         16
        .size:           8
        .value_kind:     global_buffer
      - .actual_access:  read_only
        .address_space:  global
        .offset:         24
        .size:           8
        .value_kind:     global_buffer
      - .actual_access:  read_only
        .address_space:  global
        .offset:         32
        .size:           8
        .value_kind:     global_buffer
      - .offset:         40
        .size:           8
        .value_kind:     by_value
      - .address_space:  global
        .offset:         48
        .size:           8
        .value_kind:     global_buffer
      - .address_space:  global
        .offset:         56
        .size:           8
        .value_kind:     global_buffer
      - .address_space:  global
        .offset:         64
        .size:           8
        .value_kind:     global_buffer
      - .address_space:  global
        .offset:         72
        .size:           8
        .value_kind:     global_buffer
      - .offset:         80
        .size:           4
        .value_kind:     by_value
      - .address_space:  global
        .offset:         88
        .size:           8
        .value_kind:     global_buffer
      - .address_space:  global
        .offset:         96
        .size:           8
        .value_kind:     global_buffer
    .group_segment_fixed_size: 32256
    .kernarg_segment_align: 8
    .kernarg_segment_size: 104
    .language:       OpenCL C
    .language_version:
      - 2
      - 0
    .max_flat_workgroup_size: 224
    .name:           bluestein_single_fwd_len2016_dim1_sp_op_CI_CI
    .private_segment_fixed_size: 0
    .sgpr_count:     24
    .sgpr_spill_count: 0
    .symbol:         bluestein_single_fwd_len2016_dim1_sp_op_CI_CI.kd
    .uniform_work_group_size: 1
    .uses_dynamic_stack: false
    .vgpr_count:     247
    .vgpr_spill_count: 0
    .wavefront_size: 64
amdhsa.target:   amdgcn-amd-amdhsa--gfx906
amdhsa.version:
  - 1
  - 2
...

	.end_amdgpu_metadata
